;; amdgpu-corpus repo=ROCm/rocFFT kind=compiled arch=gfx1030 opt=O3
	.text
	.amdgcn_target "amdgcn-amd-amdhsa--gfx1030"
	.amdhsa_code_object_version 6
	.protected	bluestein_single_back_len3840_dim1_sp_op_CI_CI ; -- Begin function bluestein_single_back_len3840_dim1_sp_op_CI_CI
	.globl	bluestein_single_back_len3840_dim1_sp_op_CI_CI
	.p2align	8
	.type	bluestein_single_back_len3840_dim1_sp_op_CI_CI,@function
bluestein_single_back_len3840_dim1_sp_op_CI_CI: ; @bluestein_single_back_len3840_dim1_sp_op_CI_CI
; %bb.0:
	s_load_dwordx4 s[12:15], s[4:5], 0x28
	s_mov_b64 s[22:23], s[2:3]
	s_mov_b64 s[20:21], s[0:1]
	v_mov_b32_e32 v230, v0
	s_add_u32 s20, s20, s7
	s_addc_u32 s21, s21, 0
	s_mov_b32 s7, 0
	s_mov_b32 s1, exec_lo
	s_waitcnt lgkmcnt(0)
	v_cmpx_lt_u64_e64 s[6:7], s[12:13]
	s_cbranch_execz .LBB0_2
; %bb.1:
	s_clause 0x1
	s_load_dwordx4 s[0:3], s[4:5], 0x18
	s_load_dwordx4 s[8:11], s[4:5], 0x0
	v_mov_b32_e32 v2, s6
	v_mov_b32_e32 v3, s7
	v_or_b32_e32 v82, 0x600, v230
	v_or_b32_e32 v89, 0x300, v230
	;; [unrolled: 1-line block ×3, first 2 shown]
	v_mov_b32_e32 v4, v2
	v_or_b32_e32 v49, 0x380, v230
	v_lshlrev_b32_e32 v31, 3, v82
	v_lshlrev_b32_e32 v197, 3, v89
	v_or_b32_e32 v50, 0x180, v230
	v_or_b32_e32 v51, 0x100, v230
	v_lshlrev_b32_e32 v59, 3, v49
	v_or_b32_e32 v90, 0x200, v230
	v_or_b32_e32 v91, 0x280, v230
	v_lshlrev_b32_e32 v74, 3, v50
	v_lshlrev_b32_e32 v63, 3, v51
	v_or_b32_e32 v85, 0x480, v230
	v_lshlrev_b32_e32 v62, 3, v90
	s_waitcnt lgkmcnt(0)
	s_load_dwordx4 s[16:19], s[0:1], 0x0
	buffer_store_dword v4, off, s[20:23], 0 ; 4-byte Folded Spill
	buffer_store_dword v5, off, s[20:23], 0 offset:4 ; 4-byte Folded Spill
	s_add_u32 s6, s8, 0x7800
	s_addc_u32 s7, s9, 0
	buffer_store_dword v31, off, s[20:23], 0 offset:252 ; 4-byte Folded Spill
	global_load_dwordx2 v[92:93], v197, s[8:9]
	v_lshlrev_b32_e32 v64, 3, v91
	v_lshlrev_b32_e32 v70, 3, v85
	v_or_b32_e32 v86, 0x400, v230
	v_or_b32_e32 v87, 0x500, v230
	;; [unrolled: 1-line block ×4, first 2 shown]
	v_lshlrev_b32_e32 v66, 3, v86
	v_lshlrev_b32_e32 v73, 3, v87
	;; [unrolled: 1-line block ×4, first 2 shown]
	s_waitcnt lgkmcnt(0)
	v_mad_u64_u32 v[0:1], null, s18, v2, 0
	v_mad_u64_u32 v[2:3], null, s16, v230, 0
	s_mul_i32 s1, s17, 0xc00
	s_mul_hi_u32 s12, s16, 0xc00
	s_mul_i32 s0, s16, 0xc00
	s_add_i32 s1, s12, s1
	s_mul_i32 s12, s17, 0xffff9800
	s_sub_i32 s12, s12, s16
	v_mad_u64_u32 v[4:5], null, s19, v4, v[1:2]
	v_mad_u64_u32 v[5:6], null, s17, v230, v[3:4]
	v_mov_b32_e32 v1, v4
	v_lshlrev_b64 v[0:1], 3, v[0:1]
	v_mov_b32_e32 v3, v5
	v_add_co_u32 v0, vcc_lo, s14, v0
	v_lshlrev_b64 v[2:3], 3, v[2:3]
	v_add_co_ci_u32_e32 v1, vcc_lo, s15, v1, vcc_lo
	v_add_co_u32 v9, vcc_lo, v0, v2
	v_add_co_ci_u32_e32 v10, vcc_lo, v1, v3, vcc_lo
	v_lshlrev_b32_e32 v0, 3, v230
	v_add_co_u32 v15, vcc_lo, v9, s0
	v_add_co_ci_u32_e32 v16, vcc_lo, s1, v10, vcc_lo
	s_clause 0x1
	global_load_dwordx2 v[108:109], v0, s[8:9]
	global_load_dwordx2 v[94:95], v0, s[8:9] offset:1024
	v_add_co_u32 v13, vcc_lo, v15, s0
	v_add_co_ci_u32_e32 v14, vcc_lo, s1, v16, vcc_lo
	global_load_dwordx2 v[11:12], v[9:10], off
	v_add_co_u32 v5, vcc_lo, v13, s0
	global_load_dwordx2 v[27:28], v[13:14], off
	v_add_co_ci_u32_e32 v6, vcc_lo, s1, v14, vcc_lo
	v_add_co_u32 v17, vcc_lo, v5, s0
	v_lshlrev_b32_e32 v13, 3, v83
	v_add_co_ci_u32_e32 v18, vcc_lo, s1, v6, vcc_lo
	v_add_co_u32 v1, vcc_lo, v17, s0
	buffer_store_dword v13, off, s[20:23], 0 offset:248 ; 4-byte Folded Spill
	v_add_co_ci_u32_e32 v2, vcc_lo, s1, v18, vcc_lo
	v_add_co_u32 v19, vcc_lo, v1, s0
	v_or_b32_e32 v214, 0x4800, v0
	v_add_co_ci_u32_e32 v20, vcc_lo, s1, v2, vcc_lo
	v_add_co_u32 v3, vcc_lo, v19, s0
	v_or_b32_e32 v219, 0x4c00, v0
	;; [unrolled: 3-line block ×4, first 2 shown]
	v_add_co_ci_u32_e32 v8, vcc_lo, s1, v22, vcc_lo
	v_or_b32_e32 v71, 0x3c00, v0
	v_or_b32_e32 v75, 0x4000, v0
	;; [unrolled: 1-line block ×3, first 2 shown]
	v_mad_u64_u32 v[23:24], null, 0xffff9800, s16, v[7:8]
	v_or_b32_e32 v69, 0x5800, v0
	v_or_b32_e32 v72, 0x6c00, v0
	;; [unrolled: 1-line block ×4, first 2 shown]
	v_add_nc_u32_e32 v24, s12, v24
	v_add_co_u32 v25, vcc_lo, v23, s0
	v_add_co_ci_u32_e32 v26, vcc_lo, s1, v24, vcc_lo
	v_add_co_u32 v9, vcc_lo, v25, s0
	global_load_dwordx2 v[23:24], v[23:24], off
	v_add_co_ci_u32_e32 v10, vcc_lo, s1, v26, vcc_lo
	global_load_dwordx2 v[54:55], v59, s[8:9]
	global_load_dwordx2 v[29:30], v[9:10], off
	v_add_co_u32 v9, vcc_lo, v9, s0
	v_add_co_ci_u32_e32 v10, vcc_lo, s1, v10, vcc_lo
	s_clause 0x1
	global_load_dwordx2 v[79:80], v31, s[8:9]
	global_load_dwordx2 v[77:78], v13, s[8:9]
	v_add_co_u32 v31, vcc_lo, v9, s0
	v_add_co_ci_u32_e32 v32, vcc_lo, s1, v10, vcc_lo
	global_load_dwordx2 v[17:18], v[17:18], off
	v_add_co_u32 v13, vcc_lo, v31, s0
	v_add_co_ci_u32_e32 v14, vcc_lo, s1, v32, vcc_lo
	global_load_dwordx2 v[56:57], v214, s[8:9]
	v_add_co_u32 v33, vcc_lo, v13, s0
	v_add_co_ci_u32_e32 v34, vcc_lo, s1, v14, vcc_lo
	global_load_dwordx2 v[19:20], v[19:20], off
	global_load_dwordx2 v[31:32], v[31:32], off
	global_load_dwordx2 v[98:99], v219, s[8:9]
	global_load_dwordx2 v[35:36], v[33:34], off
	v_add_co_u32 v33, vcc_lo, v33, s0
	v_add_co_ci_u32_e32 v34, vcc_lo, s1, v34, vcc_lo
	global_load_dwordx2 v[104:105], v60, s[8:9]
	v_add_co_u32 v37, vcc_lo, v33, s0
	v_add_co_ci_u32_e32 v38, vcc_lo, s1, v34, vcc_lo
	global_load_dwordx2 v[21:22], v[21:22], off
	global_load_dwordx2 v[106:107], v61, s[8:9]
	global_load_dwordx2 v[39:40], v[37:38], off
	v_add_co_u32 v37, vcc_lo, v37, s0
	v_add_co_ci_u32_e32 v38, vcc_lo, s1, v38, vcc_lo
	global_load_dwordx2 v[110:111], v74, s[8:9]
	global_load_dwordx2 v[15:16], v[15:16], off
	v_mad_u64_u32 v[41:42], null, 0xffff9800, s16, v[37:38]
	v_add_nc_u32_e32 v42, s12, v42
	s_clause 0x1
	global_load_dwordx2 v[102:103], v63, s[8:9]
	global_load_dwordx2 v[100:101], v62, s[8:9]
	global_load_dwordx2 v[43:44], v[41:42], off
	global_load_dwordx2 v[25:26], v[25:26], off
	v_add_co_u32 v41, vcc_lo, v41, s0
	v_add_co_ci_u32_e32 v42, vcc_lo, s1, v42, vcc_lo
	global_load_dwordx2 v[96:97], v64, s[8:9]
	global_load_dwordx2 v[45:46], v[41:42], off
	s_waitcnt vmcnt(26)
	buffer_store_dword v108, off, s[20:23], 0 offset:232 ; 4-byte Folded Spill
	buffer_store_dword v109, off, s[20:23], 0 offset:236 ; 4-byte Folded Spill
	global_load_dwordx2 v[114:115], v70, s[8:9]
	buffer_store_dword v92, off, s[20:23], 0 offset:216 ; 4-byte Folded Spill
	buffer_store_dword v93, off, s[20:23], 0 offset:220 ; 4-byte Folded Spill
	s_waitcnt vmcnt(26)
	buffer_store_dword v94, off, s[20:23], 0 offset:240 ; 4-byte Folded Spill
	buffer_store_dword v95, off, s[20:23], 0 offset:244 ; 4-byte Folded Spill
	s_waitcnt vmcnt(22)
	buffer_store_dword v54, off, s[20:23], 0 offset:224 ; 4-byte Folded Spill
	buffer_store_dword v55, off, s[20:23], 0 offset:228 ; 4-byte Folded Spill
	v_mul_f32_e32 v48, v11, v109
	v_mul_f32_e32 v47, v12, v109
	;; [unrolled: 1-line block ×4, first 2 shown]
	v_fma_f32 v48, v12, v108, -v48
	v_fmac_f32_e32 v47, v11, v108
	v_mul_f32_e32 v12, v23, v95
	v_mul_f32_e32 v11, v24, v95
	v_fma_f32 v53, v28, v92, -v53
	v_fmac_f32_e32 v52, v27, v92
	global_load_dwordx2 v[92:93], v73, s[8:9]
	v_fma_f32 v12, v24, v94, -v12
	v_fmac_f32_e32 v11, v23, v94
	global_load_dwordx2 v[94:95], v66, s[8:9]
	v_add_co_u32 v23, vcc_lo, v41, s0
	v_add_co_ci_u32_e32 v24, vcc_lo, s1, v42, vcc_lo
	ds_write2st64_b64 v0, v[47:48], v[11:12] offset1:2
	s_waitcnt vmcnt(23)
	v_mul_f32_e32 v28, v29, v55
	v_mul_f32_e32 v27, v30, v55
	v_fma_f32 v28, v30, v54, -v28
	v_fmac_f32_e32 v27, v29, v54
	s_clause 0x1
	global_load_dwordx2 v[54:55], v67, s[8:9]
	global_load_dwordx2 v[112:113], v71, s[8:9]
	global_load_dwordx2 v[5:6], v[5:6], off
	s_waitcnt vmcnt(25)
	buffer_store_dword v79, off, s[20:23], 0 offset:200 ; 4-byte Folded Spill
	buffer_store_dword v80, off, s[20:23], 0 offset:204 ; 4-byte Folded Spill
	ds_write2st64_b64 v0, v[52:53], v[27:28] offset0:12 offset1:14
	s_waitcnt vmcnt(22)
	buffer_store_dword v56, off, s[20:23], 0 offset:176 ; 4-byte Folded Spill
	buffer_store_dword v57, off, s[20:23], 0 offset:180 ; 4-byte Folded Spill
	;; [unrolled: 1-line block ×4, first 2 shown]
	s_waitcnt vmcnt(19)
	buffer_store_dword v98, off, s[20:23], 0 offset:184 ; 4-byte Folded Spill
	buffer_store_dword v99, off, s[20:23], 0 offset:188 ; 4-byte Folded Spill
	s_clause 0x1
	global_load_dwordx2 v[52:53], v75, s[8:9]
	global_load_dwordx2 v[108:109], v68, s[8:9]
	v_mul_f32_e32 v12, v17, v80
	v_mul_f32_e32 v11, v18, v80
	v_or_b32_e32 v80, 0x5c00, v0
	v_mul_f32_e32 v27, v20, v57
	v_mul_f32_e32 v29, v31, v78
	v_fma_f32 v12, v18, v79, -v12
	v_mul_f32_e32 v18, v19, v57
	v_fmac_f32_e32 v11, v17, v79
	v_fmac_f32_e32 v27, v19, v56
	v_mul_f32_e32 v17, v32, v78
	s_waitcnt vmcnt(20)
	v_mul_f32_e32 v19, v36, v99
	v_fma_f32 v28, v20, v56, -v18
	v_mul_f32_e32 v20, v35, v99
	v_fma_f32 v18, v32, v77, -v29
	v_fmac_f32_e32 v17, v31, v77
	v_fmac_f32_e32 v19, v35, v98
	global_load_dwordx2 v[29:30], v[23:24], off
	v_fma_f32 v20, v36, v98, -v20
	v_or_b32_e32 v77, 0x4400, v0
	ds_write2st64_b64 v0, v[11:12], v[17:18] offset0:24 offset1:26
	s_waitcnt vmcnt(20)
	buffer_store_dword v104, off, s[20:23], 0 offset:192 ; 4-byte Folded Spill
	buffer_store_dword v105, off, s[20:23], 0 offset:196 ; 4-byte Folded Spill
	v_or_b32_e32 v79, 0x5000, v0
	ds_write2st64_b64 v0, v[27:28], v[19:20] offset0:36 offset1:38
	s_clause 0x1
	global_load_dwordx2 v[47:48], v69, s[8:9]
	global_load_dwordx2 v[56:57], v72, s[8:9]
	s_waitcnt vmcnt(20)
	buffer_store_dword v106, off, s[20:23], 0 offset:160 ; 4-byte Folded Spill
	buffer_store_dword v107, off, s[20:23], 0 offset:164 ; 4-byte Folded Spill
	global_load_dwordx2 v[41:42], v76, s[8:9]
	global_load_dwordx2 v[1:2], v[1:2], off
	global_load_dwordx2 v[3:4], v[3:4], off
	;; [unrolled: 1-line block ×6, first 2 shown]
	s_waitcnt vmcnt(25)
	buffer_store_dword v110, off, s[20:23], 0 offset:168 ; 4-byte Folded Spill
	buffer_store_dword v111, off, s[20:23], 0 offset:172 ; 4-byte Folded Spill
	v_or_b32_e32 v78, 0x6800, v0
	v_mul_f32_e32 v11, v22, v105
	v_mul_f32_e32 v12, v21, v105
	;; [unrolled: 1-line block ×3, first 2 shown]
	v_fmac_f32_e32 v11, v21, v104
	v_fma_f32 v12, v22, v104, -v12
	v_add_co_u32 v21, vcc_lo, v23, s0
	v_fma_f32 v18, v40, v106, -v17
	v_mul_f32_e32 v17, v40, v107
	s_waitcnt vmcnt(24)
	v_mul_f32_e32 v23, v15, v111
	v_add_co_ci_u32_e32 v22, vcc_lo, s1, v24, vcc_lo
	v_fmac_f32_e32 v17, v39, v106
	ds_write2st64_b64 v0, v[11:12], v[17:18] offset0:48 offset1:50
	s_waitcnt vmcnt(23)
	buffer_store_dword v102, off, s[20:23], 0 offset:144 ; 4-byte Folded Spill
	buffer_store_dword v103, off, s[20:23], 0 offset:148 ; 4-byte Folded Spill
	s_waitcnt vmcnt(22)
	buffer_store_dword v100, off, s[20:23], 0 offset:152 ; 4-byte Folded Spill
	buffer_store_dword v101, off, s[20:23], 0 offset:156 ; 4-byte Folded Spill
	v_mul_f32_e32 v17, v16, v111
	v_fma_f32 v18, v16, v110, -v23
	v_add_co_u32 v11, vcc_lo, v21, s0
	v_add_co_ci_u32_e32 v12, vcc_lo, s1, v22, vcc_lo
	v_fmac_f32_e32 v17, v15, v110
	global_load_dwordx2 v[21:22], v[21:22], off
	s_waitcnt vmcnt(22)
	v_mul_f32_e32 v16, v43, v103
	v_mul_f32_e32 v15, v44, v103
	s_waitcnt vmcnt(21)
	v_mul_f32_e32 v23, v25, v101
	v_fma_f32 v16, v44, v102, -v16
	v_fmac_f32_e32 v15, v43, v102
	v_fma_f32 v24, v26, v100, -v23
	v_mul_f32_e32 v23, v26, v101
	global_load_dwordx2 v[35:36], v65, s[8:9]
	global_load_dwordx2 v[26:27], v[37:38], off
	global_load_dwordx2 v[31:32], v[11:12], off
	ds_write2st64_b64 v0, v[15:16], v[17:18] offset0:4 offset1:6
	s_waitcnt vmcnt(23)
	buffer_store_dword v96, off, s[20:23], 0 offset:136 ; 4-byte Folded Spill
	buffer_store_dword v97, off, s[20:23], 0 offset:140 ; 4-byte Folded Spill
	v_add_co_u32 v11, vcc_lo, v11, s0
	v_fmac_f32_e32 v23, v25, v100
	v_add_co_ci_u32_e32 v12, vcc_lo, s1, v12, vcc_lo
	global_load_dwordx2 v[33:34], v77, s[8:9]
	s_waitcnt vmcnt(23)
	v_mul_f32_e32 v16, v45, v97
	v_mul_f32_e32 v15, v46, v97
	v_fma_f32 v16, v46, v96, -v16
	v_fmac_f32_e32 v15, v45, v96
	ds_write2st64_b64 v0, v[23:24], v[15:16] offset0:8 offset1:10
	global_load_dwordx2 v[15:16], v[11:12], off
	s_waitcnt vmcnt(23)
	buffer_store_dword v114, off, s[20:23], 0 offset:120 ; 4-byte Folded Spill
	buffer_store_dword v115, off, s[20:23], 0 offset:124 ; 4-byte Folded Spill
	s_waitcnt vmcnt(21)
	buffer_store_dword v94, off, s[20:23], 0 offset:128 ; 4-byte Folded Spill
	buffer_store_dword v95, off, s[20:23], 0 offset:132 ; 4-byte Folded Spill
	s_waitcnt vmcnt(19)
	buffer_store_dword v112, off, s[20:23], 0 offset:112 ; 4-byte Folded Spill
	buffer_store_dword v113, off, s[20:23], 0 offset:116 ; 4-byte Folded Spill
	v_add_co_u32 v11, vcc_lo, v11, s0
	v_add_co_ci_u32_e32 v12, vcc_lo, s1, v12, vcc_lo
	s_waitcnt vmcnt(18)
	v_mul_f32_e32 v18, v5, v115
	v_mul_f32_e32 v17, v6, v115
	s_waitcnt vmcnt(11)
	v_mul_f32_e32 v23, v1, v113
	v_fma_f32 v18, v6, v114, -v18
	v_fmac_f32_e32 v17, v5, v114
	v_mul_f32_e32 v6, v29, v95
	v_mul_f32_e32 v5, v30, v95
	v_fma_f32 v6, v30, v94, -v6
	v_fmac_f32_e32 v5, v29, v94
	ds_write2st64_b64 v0, v[5:6], v[17:18] offset0:16 offset1:18
	buffer_store_dword v108, off, s[20:23], 0 offset:104 ; 4-byte Folded Spill
	buffer_store_dword v109, off, s[20:23], 0 offset:108 ; 4-byte Folded Spill
	;; [unrolled: 1-line block ×12, first 2 shown]
	global_load_dwordx2 v[28:29], v79, s[8:9]
	s_waitcnt vmcnt(5)
	buffer_store_dword v35, off, s[20:23], 0 offset:48 ; 4-byte Folded Spill
	buffer_store_dword v36, off, s[20:23], 0 offset:52 ; 4-byte Folded Spill
	;; [unrolled: 1-line block ×4, first 2 shown]
	v_mul_f32_e32 v5, v2, v113
	v_fma_f32 v6, v2, v112, -v23
	v_fmac_f32_e32 v5, v1, v112
	v_mul_f32_e32 v18, v3, v109
	v_mul_f32_e32 v17, v4, v109
	;; [unrolled: 1-line block ×4, first 2 shown]
	v_fma_f32 v18, v4, v108, -v18
	v_fmac_f32_e32 v17, v3, v108
	v_mul_f32_e32 v4, v9, v93
	v_mul_f32_e32 v3, v10, v93
	v_fmac_f32_e32 v1, v7, v56
	v_mul_f32_e32 v7, v14, v53
	v_fma_f32 v2, v8, v56, -v2
	v_mul_f32_e32 v8, v13, v53
	v_fma_f32 v4, v10, v92, -v4
	v_fmac_f32_e32 v3, v9, v92
	v_mul_f32_e32 v10, v19, v48
	v_mul_f32_e32 v23, v21, v55
	v_fmac_f32_e32 v7, v13, v52
	v_mul_f32_e32 v9, v22, v55
	v_mul_f32_e32 v13, v20, v48
	v_fma_f32 v8, v14, v52, -v8
	v_fma_f32 v14, v20, v47, -v10
	;; [unrolled: 1-line block ×3, first 2 shown]
	v_fmac_f32_e32 v9, v21, v54
	v_fmac_f32_e32 v13, v19, v47
	s_waitcnt vmcnt(3)
	v_mul_f32_e32 v19, v31, v36
	v_mul_f32_e32 v20, v26, v42
	global_load_dwordx2 v[22:23], v80, s[8:9]
	ds_write2st64_b64 v0, v[3:4], v[9:10] offset0:20 offset1:22
	v_mul_f32_e32 v3, v32, v36
	v_fma_f32 v4, v32, v35, -v19
	v_add_co_u32 v19, vcc_lo, v11, s0
	v_fma_f32 v10, v27, v41, -v20
	v_add_co_ci_u32_e32 v20, vcc_lo, s1, v12, vcc_lo
	global_load_dwordx2 v[11:12], v[11:12], off
	s_waitcnt vmcnt(4)
	buffer_store_dword v33, off, s[20:23], 0 offset:40 ; 4-byte Folded Spill
	buffer_store_dword v34, off, s[20:23], 0 offset:44 ; 4-byte Folded Spill
	v_fmac_f32_e32 v3, v31, v35
	global_load_dwordx2 v[24:25], v78, s[8:9]
	v_mul_f32_e32 v9, v27, v42
	ds_write2st64_b64 v0, v[3:4], v[5:6] offset0:28 offset1:30
	v_add_co_u32 v5, vcc_lo, v19, s0
	v_add_co_ci_u32_e32 v6, vcc_lo, s1, v20, vcc_lo
	global_load_dwordx2 v[19:20], v[19:20], off
	v_fmac_f32_e32 v9, v26, v41
	s_waitcnt vmcnt(5)
	v_mul_f32_e32 v21, v15, v34
	v_mul_f32_e32 v3, v16, v34
	v_fma_f32 v4, v16, v33, -v21
	v_fmac_f32_e32 v3, v15, v33
	v_add_co_u32 v15, vcc_lo, v5, s0
	v_add_co_ci_u32_e32 v16, vcc_lo, s1, v6, vcc_lo
	global_load_dwordx2 v[5:6], v[5:6], off
	ds_write2st64_b64 v0, v[7:8], v[3:4] offset0:32 offset1:34
	s_waitcnt vmcnt(5)
	buffer_store_dword v28, off, s[20:23], 0 offset:32 ; 4-byte Folded Spill
	buffer_store_dword v29, off, s[20:23], 0 offset:36 ; 4-byte Folded Spill
	s_waitcnt vmcnt(4)
	buffer_store_dword v22, off, s[20:23], 0 offset:24 ; 4-byte Folded Spill
	buffer_store_dword v23, off, s[20:23], 0 offset:28 ; 4-byte Folded Spill
	;; [unrolled: 3-line block ×3, first 2 shown]
	v_cmp_gt_u32_e32 vcc_lo, 0x78, v230
	v_mul_f32_e32 v4, v11, v29
	s_waitcnt vmcnt(1)
	v_mul_f32_e32 v8, v19, v23
	v_mul_f32_e32 v7, v20, v23
	;; [unrolled: 1-line block ×3, first 2 shown]
	v_fma_f32 v4, v12, v28, -v4
	v_fma_f32 v8, v20, v22, -v8
	v_fmac_f32_e32 v7, v19, v22
	global_load_dwordx2 v[19:20], v81, s[8:9]
	v_fmac_f32_e32 v3, v11, v28
	s_waitcnt vmcnt(1)
	v_mul_f32_e32 v12, v5, v25
	v_mul_f32_e32 v11, v6, v25
	s_waitcnt vmcnt(0)
	buffer_store_dword v19, off, s[20:23], 0 offset:8 ; 4-byte Folded Spill
	buffer_store_dword v20, off, s[20:23], 0 offset:12 ; 4-byte Folded Spill
	v_fma_f32 v12, v6, v24, -v12
	v_fmac_f32_e32 v11, v5, v24
	global_load_dwordx2 v[5:6], v[15:16], off
	s_load_dwordx4 s[0:3], s[2:3], 0x0
	s_waitcnt vmcnt(0)
	v_mul_f32_e32 v15, v5, v20
	v_fma_f32 v16, v6, v19, -v15
	v_mul_f32_e32 v15, v6, v20
	v_fmac_f32_e32 v15, v5, v19
	ds_write2st64_b64 v0, v[3:4], v[17:18] offset0:40 offset1:42
	ds_write2st64_b64 v0, v[13:14], v[7:8] offset0:44 offset1:46
	ds_write2st64_b64 v0, v[11:12], v[1:2] offset0:52 offset1:54
	ds_write2st64_b64 v0, v[9:10], v[15:16] offset0:56 offset1:58
	s_waitcnt lgkmcnt(0)
	s_waitcnt_vscnt null, 0x0
	s_barrier
	buffer_gl0_inv
	ds_read2st64_b64 v[1:4], v0 offset1:2
	ds_read2st64_b64 v[5:8], v0 offset0:12 offset1:14
	ds_read2st64_b64 v[9:12], v0 offset0:24 offset1:26
	;; [unrolled: 1-line block ×3, first 2 shown]
	s_waitcnt lgkmcnt(2)
	v_add_f32_e32 v13, v1, v5
	v_add_f32_e32 v14, v2, v6
	;; [unrolled: 1-line block ×4, first 2 shown]
	s_waitcnt lgkmcnt(0)
	v_add_f32_e32 v107, v9, v39
	v_add_f32_e32 v25, v13, v9
	;; [unrolled: 1-line block ×5, first 2 shown]
	v_sub_f32_e32 v27, v10, v40
	v_sub_f32_e32 v111, v5, v9
	v_sub_f32_e32 v35, v9, v5
	v_add_f32_e32 v108, v10, v40
	v_sub_f32_e32 v28, v9, v39
	v_sub_f32_e32 v112, v6, v10
	v_sub_f32_e32 v36, v10, v6
	v_add_f32_e32 v21, v11, v41
	;; [unrolled: 4-line block ×3, first 2 shown]
	v_sub_f32_e32 v14, v11, v41
	v_sub_f32_e32 v24, v8, v12
	;; [unrolled: 1-line block ×3, first 2 shown]
	ds_read2st64_b64 v[9:12], v0 offset0:48 offset1:50
	v_fma_f32 v107, -0.5, v107, v1
	v_fma_f32 v108, -0.5, v108, v2
	s_waitcnt lgkmcnt(0)
	v_sub_f32_e32 v31, v6, v10
	v_add_f32_e32 v38, v5, v9
	v_sub_f32_e32 v32, v5, v9
	v_add_f32_e32 v37, v6, v10
	;; [unrolled: 2-line block ×4, first 2 shown]
	v_add_f32_e32 v5, v25, v39
	v_add_f32_e32 v6, v26, v40
	;; [unrolled: 1-line block ×4, first 2 shown]
	v_sub_f32_e32 v118, v9, v39
	v_sub_f32_e32 v43, v39, v9
	;; [unrolled: 1-line block ×8, first 2 shown]
	v_add_f32_e32 v40, v5, v9
	v_add_f32_e32 v41, v6, v10
	;; [unrolled: 1-line block ×4, first 2 shown]
	ds_read2st64_b64 v[5:8], v0 offset0:4 offset1:6
	ds_read2st64_b64 v[9:12], v0 offset0:16 offset1:18
	;; [unrolled: 1-line block ×4, first 2 shown]
	v_fma_f32 v1, -0.5, v38, v1
	v_add_f32_e32 v35, v35, v43
	v_fma_f32 v2, -0.5, v37, v2
	v_add_f32_e32 v36, v36, v44
	v_add_f32_e32 v111, v111, v118
	;; [unrolled: 1-line block ×3, first 2 shown]
	s_waitcnt lgkmcnt(2)
	v_add_f32_e32 v54, v7, v11
	s_waitcnt lgkmcnt(1)
	v_sub_f32_e32 v42, v12, v116
	s_waitcnt lgkmcnt(0)
	v_sub_f32_e32 v131, v11, v101
	v_add_f32_e32 v53, v11, v115
	v_sub_f32_e32 v92, v101, v11
	v_add_f32_e32 v55, v8, v12
	v_sub_f32_e32 v45, v11, v115
	v_sub_f32_e32 v132, v12, v102
	v_add_f32_e32 v52, v12, v116
	v_sub_f32_e32 v94, v102, v12
	v_add_f32_e32 v11, v5, v9
	v_add_f32_e32 v12, v6, v10
	v_sub_f32_e32 v39, v10, v114
	v_sub_f32_e32 v93, v9, v99
	v_add_f32_e32 v46, v9, v113
	v_sub_f32_e32 v48, v99, v9
	v_sub_f32_e32 v47, v9, v113
	;; [unrolled: 3-line block ×3, first 2 shown]
	v_add_f32_e32 v56, v11, v99
	v_add_f32_e32 v57, v12, v100
	ds_read2st64_b64 v[9:12], v0 offset0:40 offset1:42
	v_add_f32_e32 v54, v54, v101
	v_add_f32_e32 v55, v55, v102
	s_waitcnt lgkmcnt(0)
	v_add_f32_e32 v54, v54, v11
	v_add_f32_e32 v55, v55, v12
	v_add_f32_e32 v57, v57, v10
	v_add_f32_e32 v58, v101, v11
	v_sub_f32_e32 v145, v102, v12
	v_add_f32_e32 v146, v102, v12
	v_sub_f32_e32 v147, v101, v11
	v_add_f32_e32 v104, v99, v9
	;; [unrolled: 2-line block ×4, first 2 shown]
	v_sub_f32_e32 v148, v115, v11
	v_sub_f32_e32 v149, v11, v115
	;; [unrolled: 1-line block ×8, first 2 shown]
	v_add_f32_e32 v54, v54, v115
	v_add_f32_e32 v55, v55, v116
	;; [unrolled: 1-line block ×3, first 2 shown]
	ds_read2st64_b64 v[9:12], v0 offset0:8 offset1:10
	ds_read2st64_b64 v[114:117], v0 offset0:20 offset1:22
	;; [unrolled: 1-line block ×4, first 2 shown]
	v_add_f32_e32 v43, v92, v149
	v_fmamk_f32 v92, v27, 0xbf737871, v1
	v_fmac_f32_e32 v1, 0x3f737871, v27
	v_fma_f32 v58, -0.5, v58, v7
	v_add_f32_e32 v44, v94, v151
	v_fmamk_f32 v94, v28, 0x3f737871, v2
	v_fmac_f32_e32 v92, 0x3f167918, v31
	v_fmac_f32_e32 v1, 0xbf167918, v31
	;; [unrolled: 1-line block ×3, first 2 shown]
	v_fma_f32 v7, -0.5, v53, v7
	v_add_f32_e32 v99, v56, v113
	v_fmac_f32_e32 v92, 0x3e9e377a, v35
	v_fmac_f32_e32 v1, 0x3e9e377a, v35
	;; [unrolled: 1-line block ×4, first 2 shown]
	v_fmamk_f32 v35, v145, 0xbf737871, v7
	v_fmac_f32_e32 v7, 0x3f737871, v145
	s_waitcnt lgkmcnt(2)
	v_add_f32_e32 v141, v12, v117
	v_add_f32_e32 v124, v10, v115
	;; [unrolled: 1-line block ×4, first 2 shown]
	s_waitcnt lgkmcnt(0)
	v_sub_f32_e32 v121, v115, v134
	v_add_f32_e32 v154, v141, v140
	ds_read2st64_b64 v[141:144], v0 offset0:44 offset1:46
	v_add_f32_e32 v124, v124, v138
	v_add_f32_e32 v130, v130, v139
	v_sub_f32_e32 v57, v114, v137
	v_add_f32_e32 v128, v114, v133
	v_sub_f32_e32 v129, v137, v114
	;; [unrolled: 2-line block ×3, first 2 shown]
	v_sub_f32_e32 v152, v115, v138
	v_sub_f32_e32 v127, v138, v115
	v_add_f32_e32 v113, v116, v135
	v_sub_f32_e32 v120, v116, v139
	v_sub_f32_e32 v115, v139, v116
	;; [unrolled: 1-line block ×3, first 2 shown]
	v_fmac_f32_e32 v94, 0x3e9e377a, v36
	v_fmac_f32_e32 v2, 0x3e9e377a, v36
	;; [unrolled: 1-line block ×3, first 2 shown]
	v_add_f32_e32 v118, v131, v148
	v_add_f32_e32 v119, v132, v150
	v_fmamk_f32 v131, v42, 0x3f737871, v58
	s_waitcnt lgkmcnt(0)
	v_add_f32_e32 v124, v124, v142
	v_add_f32_e32 v130, v130, v143
	;; [unrolled: 1-line block ×3, first 2 shown]
	v_sub_f32_e32 v116, v139, v143
	v_sub_f32_e32 v159, v135, v143
	;; [unrolled: 1-line block ×3, first 2 shown]
	v_add_f32_e32 v161, v124, v134
	v_add_f32_e32 v124, v130, v135
	v_fma_f32 v135, -0.5, v146, v8
	v_fma_f32 v8, -0.5, v52, v8
	v_fmac_f32_e32 v35, 0x3f167918, v42
	v_fmac_f32_e32 v7, 0x3e9e377a, v43
	;; [unrolled: 1-line block ×3, first 2 shown]
	v_fmamk_f32 v132, v45, 0xbf737871, v135
	v_fmamk_f32 v36, v147, 0x3f737871, v8
	v_fmac_f32_e32 v8, 0xbf737871, v147
	v_fmac_f32_e32 v135, 0x3f737871, v45
	;; [unrolled: 1-line block ×6, first 2 shown]
	v_mul_f32_e32 v52, 0xbe9e377a, v7
	v_fmac_f32_e32 v58, 0xbf167918, v145
	v_fmac_f32_e32 v135, 0x3f167918, v147
	;; [unrolled: 1-line block ×4, first 2 shown]
	v_add_f32_e32 v139, v154, v144
	v_fmac_f32_e32 v131, 0x3e9e377a, v118
	v_fmamk_f32 v146, v31, 0x3f737871, v107
	v_fmamk_f32 v148, v32, 0xbf737871, v108
	v_mul_f32_e32 v43, 0x3f737871, v36
	v_mul_f32_e32 v44, 0xbf737871, v35
	v_fmac_f32_e32 v52, 0x3f737871, v8
	v_mul_f32_e32 v8, 0xbe9e377a, v8
	v_fmac_f32_e32 v107, 0xbf737871, v31
	v_fmac_f32_e32 v108, 0x3f737871, v32
	;; [unrolled: 1-line block ×4, first 2 shown]
	v_sub_f32_e32 v106, v117, v136
	v_add_f32_e32 v123, v117, v136
	v_sub_f32_e32 v153, v117, v140
	v_sub_f32_e32 v125, v140, v117
	;; [unrolled: 1-line block ×3, first 2 shown]
	v_add_f32_e32 v140, v140, v144
	v_sub_f32_e32 v160, v144, v136
	v_sub_f32_e32 v144, v136, v144
	v_add_f32_e32 v130, v139, v136
	v_fmac_f32_e32 v132, 0xbf167918, v147
	v_mul_f32_e32 v136, 0x3f4f1bbd, v131
	v_mul_f32_e32 v139, 0xbf167918, v131
	v_fmac_f32_e32 v146, 0x3f167918, v27
	v_mul_u32_u24_e32 v131, 10, v230
	v_fmac_f32_e32 v43, 0x3e9e377a, v35
	v_fmac_f32_e32 v44, 0x3e9e377a, v36
	v_fmac_f32_e32 v8, 0xbf737871, v7
	v_fmac_f32_e32 v107, 0xbf167918, v27
	v_fmac_f32_e32 v108, 0x3f167918, v28
	v_mul_f32_e32 v7, 0xbf4f1bbd, v58
	v_mul_f32_e32 v27, 0xbf4f1bbd, v135
	v_fmac_f32_e32 v132, 0x3e9e377a, v119
	v_fmac_f32_e32 v148, 0xbf167918, v28
	v_lshlrev_b32_e32 v150, 3, v131
	v_add_f32_e32 v35, v92, v43
	v_add_f32_e32 v37, v1, v52
	;; [unrolled: 1-line block ×4, first 2 shown]
	v_fmac_f32_e32 v107, 0x3e9e377a, v111
	v_fmac_f32_e32 v108, 0x3e9e377a, v112
	;; [unrolled: 1-line block ×4, first 2 shown]
	v_add_f32_e32 v155, v137, v141
	v_fmac_f32_e32 v136, 0x3f167918, v132
	v_fmac_f32_e32 v139, 0x3f4f1bbd, v132
	;; [unrolled: 1-line block ×4, first 2 shown]
	s_barrier
	buffer_gl0_inv
	ds_write_b128 v150, v[35:38] offset:16
	v_sub_f32_e32 v37, v40, v54
	v_sub_f32_e32 v38, v41, v55
	v_add_f32_e32 v35, v107, v7
	v_add_f32_e32 v36, v108, v27
	v_sub_f32_e32 v156, v138, v142
	v_add_f32_e32 v138, v138, v142
	v_fma_f32 v31, -0.5, v155, v9
	v_sub_f32_e32 v154, v133, v141
	ds_write_b128 v150, v[35:38] offset:32
	v_sub_f32_e32 v35, v146, v136
	v_sub_f32_e32 v37, v92, v43
	;; [unrolled: 1-line block ×4, first 2 shown]
	v_fma_f32 v32, -0.5, v138, v10
	v_add_f32_e32 v56, v56, v137
	v_sub_f32_e32 v137, v137, v141
	v_sub_f32_e32 v158, v142, v134
	ds_write_b128 v150, v[35:38] offset:48
	v_sub_f32_e32 v37, v107, v7
	v_fmamk_f32 v7, v121, 0x3f737871, v31
	v_sub_f32_e32 v142, v134, v142
	v_sub_f32_e32 v36, v2, v8
	;; [unrolled: 1-line block ×3, first 2 shown]
	v_add_f32_e32 v27, v57, v154
	v_fmac_f32_e32 v7, 0x3f167918, v156
	v_fmamk_f32 v8, v122, 0xbf737871, v32
	v_sub_f32_e32 v35, v1, v52
	v_add_f32_e32 v28, v152, v142
	v_add_f32_e32 v1, v23, v33
	v_fmac_f32_e32 v7, 0x3e9e377a, v27
	v_fmac_f32_e32 v8, 0xbf167918, v137
	ds_write_b128 v150, v[35:38] offset:64
	v_add_f32_e32 v2, v24, v34
	v_fma_f32 v36, -0.5, v22, v4
	v_mul_f32_e32 v33, 0x3f4f1bbd, v7
	v_fmac_f32_e32 v8, 0x3e9e377a, v28
	v_mul_f32_e32 v34, 0xbf167918, v7
	v_fmac_f32_e32 v4, -0.5, v20
	v_or_b32_e32 v52, 0x80, v230
	v_fma_f32 v35, -0.5, v21, v3
	v_fmac_f32_e32 v33, 0x3f167918, v8
	v_fmac_f32_e32 v34, 0x3f4f1bbd, v8
	v_add_f32_e32 v8, v18, v30
	v_fmamk_f32 v18, v14, 0x3f737871, v4
	v_fmac_f32_e32 v4, 0xbf737871, v14
	v_mul_u32_u24_e32 v7, 10, v52
	v_fma_f32 v3, -0.5, v19, v3
	v_add_f32_e32 v131, v40, v54
	v_fmac_f32_e32 v18, 0xbf167918, v16
	v_fmac_f32_e32 v4, 0x3f167918, v16
	v_fmamk_f32 v37, v15, 0x3f737871, v35
	v_fmamk_f32 v38, v16, 0xbf737871, v36
	v_lshlrev_b32_e32 v40, 3, v7
	v_add_f32_e32 v7, v17, v29
	v_fmamk_f32 v17, v13, 0xbf737871, v3
	v_fmac_f32_e32 v3, 0x3f737871, v13
	v_fmac_f32_e32 v18, 0x3e9e377a, v8
	;; [unrolled: 1-line block ×3, first 2 shown]
	v_fma_f32 v8, -0.5, v128, v9
	v_add_f32_e32 v56, v56, v141
	v_sub_f32_e32 v141, v141, v133
	v_fmac_f32_e32 v37, 0x3f167918, v13
	v_fmac_f32_e32 v38, 0xbf167918, v14
	;; [unrolled: 1-line block ×4, first 2 shown]
	v_fmamk_f32 v9, v156, 0xbf737871, v8
	v_fmac_f32_e32 v8, 0x3f737871, v156
	v_fma_f32 v10, -0.5, v126, v10
	v_add_f32_e32 v56, v56, v133
	v_fmac_f32_e32 v37, 0x3e9e377a, v1
	v_fmac_f32_e32 v38, 0x3e9e377a, v2
	;; [unrolled: 1-line block ×4, first 2 shown]
	v_add_f32_e32 v7, v129, v141
	v_fmac_f32_e32 v9, 0x3f167918, v121
	v_fmac_f32_e32 v8, 0xbf167918, v121
	v_fmamk_f32 v19, v137, 0x3f737871, v10
	v_fmac_f32_e32 v10, 0xbf737871, v137
	v_add_f32_e32 v132, v41, v55
	v_add_f32_e32 v133, v146, v136
	;; [unrolled: 1-line block ×7, first 2 shown]
	v_fmac_f32_e32 v9, 0x3e9e377a, v7
	v_fmac_f32_e32 v8, 0x3e9e377a, v7
	v_add_f32_e32 v7, v127, v158
	v_fmac_f32_e32 v19, 0xbf167918, v122
	v_fmac_f32_e32 v10, 0x3f167918, v122
	;; [unrolled: 1-line block ×4, first 2 shown]
	ds_write_b128 v150, v[131:134]
	ds_write_b128 v40, v[21:24]
	v_fmac_f32_e32 v19, 0x3e9e377a, v7
	v_fmac_f32_e32 v10, 0x3e9e377a, v7
	v_mul_f32_e32 v21, 0xbf737871, v9
	v_fmac_f32_e32 v31, 0xbf167918, v156
	v_fmac_f32_e32 v32, 0x3f167918, v137
	v_mul_f32_e32 v20, 0x3f737871, v19
	v_mul_f32_e32 v22, 0xbe9e377a, v10
	v_fmac_f32_e32 v21, 0x3e9e377a, v19
	v_mul_f32_e32 v19, 0xbe9e377a, v8
	v_fmac_f32_e32 v35, 0xbf737871, v15
	v_fmac_f32_e32 v36, 0x3f737871, v16
	;; [unrolled: 1-line block ×9, first 2 shown]
	v_mul_f32_e32 v13, 0xbf4f1bbd, v31
	v_mul_f32_e32 v14, 0xbf4f1bbd, v32
	v_add_f32_e32 v7, v17, v20
	v_add_f32_e32 v9, v3, v19
	v_add_f32_e32 v8, v18, v21
	v_add_f32_e32 v10, v4, v22
	v_fmac_f32_e32 v35, 0x3e9e377a, v1
	v_fmac_f32_e32 v36, 0x3e9e377a, v2
	;; [unrolled: 1-line block ×4, first 2 shown]
	ds_write_b128 v40, v[7:10] offset:16
	v_sub_f32_e32 v9, v25, v56
	v_sub_f32_e32 v10, v26, v161
	v_add_f32_e32 v7, v35, v13
	v_add_f32_e32 v8, v36, v14
	v_sub_f32_e32 v2, v4, v22
	v_sub_f32_e32 v1, v3, v19
	;; [unrolled: 1-line block ×4, first 2 shown]
	v_fma_f32 v13, -0.5, v157, v11
	ds_write_b128 v40, v[7:10] offset:32
	v_sub_f32_e32 v7, v37, v33
	v_sub_f32_e32 v9, v17, v20
	;; [unrolled: 1-line block ×4, first 2 shown]
	ds_write_b128 v40, v[1:4] offset:64
	v_fma_f32 v14, -0.5, v140, v12
	v_fmamk_f32 v1, v106, 0x3f737871, v13
	v_fma_f32 v17, -0.5, v104, v5
	ds_write_b128 v40, v[7:10] offset:48
	v_add_f32_e32 v9, v120, v159
	v_fmamk_f32 v2, v114, 0xbf737871, v14
	v_fmac_f32_e32 v1, 0x3f167918, v117
	v_fma_f32 v18, -0.5, v105, v6
	v_add_f32_e32 v10, v153, v144
	v_fmamk_f32 v19, v39, 0x3f737871, v17
	v_fmac_f32_e32 v2, 0xbf167918, v116
	v_fmac_f32_e32 v1, 0x3e9e377a, v9
	v_fmamk_f32 v20, v47, 0xbf737871, v18
	v_add_f32_e32 v7, v93, v109
	v_add_f32_e32 v8, v103, v110
	v_fmac_f32_e32 v2, 0x3e9e377a, v10
	v_mul_f32_e32 v15, 0x3f4f1bbd, v1
	v_mul_f32_e32 v16, 0xbf167918, v1
	v_fmac_f32_e32 v19, 0x3f167918, v95
	v_fmac_f32_e32 v20, 0xbf167918, v96
	v_mul_u32_u24_e32 v21, 10, v51
	v_fmac_f32_e32 v15, 0x3f167918, v2
	v_fmac_f32_e32 v16, 0x3f4f1bbd, v2
	;; [unrolled: 1-line block ×4, first 2 shown]
	v_add_f32_e32 v1, v99, v124
	v_add_f32_e32 v2, v100, v130
	v_lshlrev_b32_e32 v26, 3, v21
	v_add_f32_e32 v3, v19, v15
	v_add_f32_e32 v4, v20, v16
	v_fmac_f32_e32 v12, -0.5, v123
	v_fma_f32 v5, -0.5, v46, v5
	v_fmac_f32_e32 v13, 0xbf737871, v106
	v_fmac_f32_e32 v6, -0.5, v97
	ds_write_b128 v26, v[1:4]
	v_fma_f32 v3, -0.5, v113, v11
	v_add_f32_e32 v1, v115, v143
	v_fmamk_f32 v11, v116, 0x3f737871, v12
	v_fmac_f32_e32 v12, 0xbf737871, v116
	v_fmamk_f32 v23, v95, 0xbf737871, v5
	v_fmamk_f32 v4, v117, 0xbf737871, v3
	v_fmac_f32_e32 v3, 0x3f737871, v117
	v_fmac_f32_e32 v5, 0x3f737871, v95
	;; [unrolled: 1-line block ×3, first 2 shown]
	v_add_f32_e32 v2, v125, v160
	v_fmac_f32_e32 v12, 0x3f167918, v114
	v_fmac_f32_e32 v3, 0xbf167918, v106
	v_add_f32_e32 v22, v48, v102
	v_fmac_f32_e32 v23, 0x3f167918, v39
	v_fmac_f32_e32 v5, 0xbf167918, v39
	v_fmamk_f32 v24, v96, 0x3f737871, v6
	v_fmac_f32_e32 v3, 0x3e9e377a, v1
	v_fmac_f32_e32 v6, 0xbf737871, v96
	;; [unrolled: 1-line block ×6, first 2 shown]
	v_mul_lo_u16 v9, 0x67, v230
	v_fmac_f32_e32 v12, 0x3e9e377a, v2
	v_mul_f32_e32 v21, 0xbe9e377a, v3
	v_fmac_f32_e32 v23, 0x3e9e377a, v22
	v_fmac_f32_e32 v5, 0x3e9e377a, v22
	v_add_f32_e32 v22, v98, v101
	v_fmac_f32_e32 v24, 0xbf167918, v47
	v_fmac_f32_e32 v6, 0x3f167918, v47
	;; [unrolled: 1-line block ×7, first 2 shown]
	v_lshrrev_b16 v94, 10, v9
	v_fmac_f32_e32 v21, 0x3f737871, v12
	v_mul_f32_e32 v12, 0xbe9e377a, v12
	v_fmac_f32_e32 v24, 0x3e9e377a, v22
	v_fmac_f32_e32 v6, 0x3e9e377a, v22
	v_mul_f32_e32 v22, 0x3f737871, v11
	v_mul_f32_e32 v25, 0xbf737871, v4
	v_fmac_f32_e32 v17, 0xbf167918, v95
	v_fmac_f32_e32 v18, 0x3f167918, v96
	;; [unrolled: 1-line block ×3, first 2 shown]
	v_mul_lo_u16 v9, v94, 10
	v_fmac_f32_e32 v22, 0x3e9e377a, v4
	v_fmac_f32_e32 v25, 0x3e9e377a, v11
	v_fmac_f32_e32 v12, 0xbf737871, v3
	v_fmac_f32_e32 v17, 0x3e9e377a, v7
	v_fmac_f32_e32 v18, 0x3e9e377a, v8
	v_mul_f32_e32 v7, 0xbf4f1bbd, v13
	v_mul_f32_e32 v8, 0xbf4f1bbd, v14
	v_sub_nc_u16 v9, v230, v9
	v_add_f32_e32 v1, v23, v22
	v_add_f32_e32 v3, v5, v21
	;; [unrolled: 1-line block ×4, first 2 shown]
	v_fmac_f32_e32 v7, 0x3f167918, v14
	v_fmac_f32_e32 v8, 0xbf167918, v13
	v_and_b32_e32 v93, 0xff, v9
	v_sub_f32_e32 v6, v6, v12
	ds_write_b128 v26, v[1:4] offset:16
	v_sub_f32_e32 v3, v99, v124
	v_sub_f32_e32 v4, v100, v130
	v_add_f32_e32 v1, v17, v7
	v_add_f32_e32 v2, v18, v8
	v_mad_u64_u32 v[9:10], null, v93, 40, s[10:11]
	v_sub_f32_e32 v5, v5, v21
	v_sub_f32_e32 v7, v17, v7
	ds_write_b128 v26, v[1:4] offset:32
	v_sub_f32_e32 v1, v19, v15
	v_sub_f32_e32 v3, v23, v22
	;; [unrolled: 1-line block ×5, first 2 shown]
	buffer_store_dword v150, off, s[20:23], 0 offset:264 ; 4-byte Folded Spill
	buffer_store_dword v40, off, s[20:23], 0 offset:260 ; 4-byte Folded Spill
	;; [unrolled: 1-line block ×3, first 2 shown]
	ds_write_b128 v26, v[1:4] offset:48
	ds_write_b128 v26, v[5:8] offset:64
	s_waitcnt lgkmcnt(0)
	s_waitcnt_vscnt null, 0x0
	s_barrier
	buffer_gl0_inv
	global_load_dwordx4 v[157:160], v[9:10], off
	v_mul_lo_u16 v1, 0xcd, v52
	s_clause 0x1
	global_load_dwordx2 v[42:43], v[9:10], off offset:32
	global_load_dwordx4 v[141:144], v[9:10], off offset:16
	v_mov_b32_e32 v146, 60
	v_lshrrev_b16 v92, 11, v1
	v_mul_lo_u16 v1, v92, 10
	v_sub_nc_u16 v1, v52, v1
	v_and_b32_e32 v53, 0xff, v1
	ds_read2st64_b64 v[1:4], v0 offset0:20 offset1:22
	s_waitcnt vmcnt(2) lgkmcnt(0)
	v_mul_f32_e32 v5, v2, v160
	v_mul_f32_e32 v8, v1, v160
	v_fma_f32 v7, v1, v159, -v5
	v_mad_u64_u32 v[5:6], null, v53, 40, s[10:11]
	v_fmac_f32_e32 v8, v2, v159
	global_load_dwordx4 v[215:218], v[5:6], off
	s_waitcnt vmcnt(0)
	v_mul_f32_e32 v1, v4, v218
	v_mul_f32_e32 v130, v3, v218
	v_fma_f32 v133, v3, v217, -v1
	v_fmac_f32_e32 v130, v4, v217
	ds_read2st64_b64 v[1:4], v0 offset0:40 offset1:42
	s_clause 0x1
	global_load_dwordx2 v[21:22], v[5:6], off offset:32
	global_load_dwordx4 v[17:20], v[5:6], off offset:16
	s_waitcnt lgkmcnt(0)
	v_mul_f32_e32 v9, v2, v144
	v_mul_f32_e32 v10, v1, v144
	v_fma_f32 v9, v1, v143, -v9
	v_fmac_f32_e32 v10, v2, v143
	s_waitcnt vmcnt(0)
	v_mul_f32_e32 v1, v4, v20
	v_mul_f32_e32 v134, v3, v20
	v_fma_f32 v136, v3, v19, -v1
	v_mul_u32_u24_e32 v1, 0x199a, v51
	v_fmac_f32_e32 v134, v4, v19
	v_lshrrev_b32_e32 v121, 16, v1
	v_mul_lo_u16 v1, v121, 10
	v_sub_nc_u16 v122, v51, v1
	v_mul_lo_u16 v1, v122, 40
	v_and_b32_e32 v1, 0xffff, v1
	v_add_co_u32 v5, s8, s10, v1
	v_add_co_ci_u32_e64 v6, null, s11, 0, s8
	ds_read2st64_b64 v[1:4], v0 offset0:12 offset1:14
	s_clause 0x2
	global_load_dwordx4 v[13:16], v[5:6], off
	global_load_dwordx4 v[25:28], v[5:6], off offset:16
	global_load_dwordx2 v[29:30], v[5:6], off offset:32
	s_waitcnt lgkmcnt(0)
	v_mul_f32_e32 v11, v2, v216
	v_mul_f32_e32 v128, v1, v216
	v_fma_f32 v127, v1, v215, -v11
	v_fmac_f32_e32 v128, v2, v215
	s_waitcnt vmcnt(2)
	v_mul_f32_e32 v1, v4, v14
	v_mul_f32_e32 v120, v3, v14
	v_fma_f32 v119, v3, v13, -v1
	v_fmac_f32_e32 v120, v4, v13
	ds_read2st64_b64 v[1:4], v0 offset0:32 offset1:34
	s_waitcnt lgkmcnt(0)
	v_mul_f32_e32 v11, v2, v18
	v_mul_f32_e32 v137, v1, v18
	s_waitcnt vmcnt(1)
	v_mul_f32_e32 v123, v3, v26
	v_fma_f32 v138, v1, v17, -v11
	v_mul_f32_e32 v1, v4, v26
	v_fmac_f32_e32 v137, v2, v17
	v_fmac_f32_e32 v123, v4, v25
	v_fma_f32 v124, v3, v25, -v1
	v_mul_u32_u24_e32 v1, 0x199a, v50
	v_lshrrev_b32_e32 v96, 16, v1
	v_mul_lo_u16 v1, v96, 10
	v_sub_nc_u16 v98, v50, v1
	v_mul_lo_u16 v1, v98, 40
	v_and_b32_e32 v1, 0xffff, v1
	v_add_co_u32 v5, s8, s10, v1
	ds_read2st64_b64 v[1:4], v0 offset0:52 offset1:54
	v_add_co_ci_u32_e64 v6, null, s11, 0, s8
	s_waitcnt lgkmcnt(0)
	v_mul_f32_e32 v11, v2, v22
	v_fma_f32 v140, v1, v21, -v11
	buffer_store_dword v21, off, s[20:23], 0 offset:276 ; 4-byte Folded Spill
	buffer_store_dword v22, off, s[20:23], 0 offset:280 ; 4-byte Folded Spill
	v_mul_f32_e32 v139, v1, v22
	v_fmac_f32_e32 v139, v2, v21
	global_load_dwordx4 v[21:24], v[5:6], off
	s_waitcnt vmcnt(1)
	buffer_store_dword v29, off, s[20:23], 0 offset:268 ; 4-byte Folded Spill
	buffer_store_dword v30, off, s[20:23], 0 offset:272 ; 4-byte Folded Spill
	v_mul_f32_e32 v1, v4, v30
	v_mul_f32_e32 v125, v3, v30
	v_fma_f32 v126, v3, v29, -v1
	v_fmac_f32_e32 v125, v4, v29
	ds_read2st64_b64 v[1:4], v0 offset0:24 offset1:26
	s_waitcnt lgkmcnt(0)
	v_mul_f32_e32 v11, v2, v16
	v_mul_f32_e32 v129, v1, v16
	s_waitcnt vmcnt(0)
	v_mul_f32_e32 v101, v3, v24
	v_fma_f32 v131, v1, v15, -v11
	v_mul_f32_e32 v1, v4, v24
	v_fmac_f32_e32 v129, v2, v15
	v_fmac_f32_e32 v101, v4, v23
	v_fma_f32 v103, v3, v23, -v1
	ds_read2st64_b64 v[1:4], v0 offset0:44 offset1:46
	s_clause 0x1
	global_load_dwordx2 v[44:45], v[5:6], off offset:32
	global_load_dwordx4 v[33:36], v[5:6], off offset:16
	s_waitcnt lgkmcnt(0)
	v_mul_f32_e32 v11, v2, v28
	v_mul_f32_e32 v132, v1, v28
	v_fma_f32 v135, v1, v27, -v11
	v_fmac_f32_e32 v132, v2, v27
	s_waitcnt vmcnt(0)
	v_mul_f32_e32 v1, v4, v36
	v_mul_f32_e32 v111, v3, v36
	v_fma_f32 v114, v3, v35, -v1
	v_mul_u32_u24_e32 v1, 0x199a, v90
	v_fmac_f32_e32 v111, v4, v35
	v_lshrrev_b32_e32 v99, 16, v1
	v_mul_lo_u16 v1, v99, 10
	v_sub_nc_u16 v100, v90, v1
	v_mul_lo_u16 v1, v100, 40
	v_and_b32_e32 v1, 0xffff, v1
	v_add_co_u32 v5, s8, s10, v1
	v_add_co_ci_u32_e64 v6, null, s11, 0, s8
	ds_read2st64_b64 v[1:4], v0 offset0:16 offset1:18
	s_clause 0x1
	global_load_dwordx4 v[29:32], v[5:6], off
	global_load_dwordx4 v[37:40], v[5:6], off offset:16
	s_waitcnt lgkmcnt(0)
	v_mul_f32_e32 v11, v2, v22
	v_mul_f32_e32 v108, v1, v22
	v_fma_f32 v107, v1, v21, -v11
	v_fmac_f32_e32 v108, v2, v21
	s_waitcnt vmcnt(1)
	v_mul_f32_e32 v1, v4, v30
	v_mul_f32_e32 v97, v3, v30
	v_fma_f32 v95, v3, v29, -v1
	v_fmac_f32_e32 v97, v4, v29
	ds_read2st64_b64 v[1:4], v0 offset0:28 offset1:30
	s_waitcnt lgkmcnt(0)
	v_mul_f32_e32 v11, v4, v142
	v_mul_f32_e32 v12, v3, v142
	;; [unrolled: 1-line block ×3, first 2 shown]
	v_fma_f32 v11, v3, v141, -v11
	v_mul_f32_e32 v3, v2, v32
	v_fmac_f32_e32 v12, v4, v141
	v_fmac_f32_e32 v102, v2, v31
	v_fma_f32 v105, v1, v31, -v3
	ds_read2st64_b64 v[1:4], v0 offset0:36 offset1:38
	s_waitcnt lgkmcnt(0)
	v_mul_f32_e32 v41, v2, v34
	v_mul_f32_e32 v115, v1, v34
	s_waitcnt vmcnt(0)
	v_mul_f32_e32 v104, v3, v38
	v_fma_f32 v116, v1, v33, -v41
	v_mul_f32_e32 v1, v4, v38
	v_fmac_f32_e32 v115, v2, v33
	v_fmac_f32_e32 v104, v4, v37
	v_fma_f32 v106, v3, v37, -v1
	ds_read2st64_b64 v[1:4], v0 offset0:48 offset1:50
	buffer_store_dword v42, off, s[20:23], 0 offset:284 ; 4-byte Folded Spill
	buffer_store_dword v43, off, s[20:23], 0 offset:288 ; 4-byte Folded Spill
	s_waitcnt lgkmcnt(0)
	v_mul_f32_e32 v109, v1, v40
	v_fmac_f32_e32 v109, v2, v39
	v_mul_f32_e32 v41, v4, v43
	v_mul_f32_e32 v55, v3, v43
	v_fma_f32 v54, v3, v42, -v41
	v_fmac_f32_e32 v55, v4, v42
	global_load_dwordx2 v[41:42], v[5:6], off offset:32
	v_mul_f32_e32 v3, v2, v40
	v_fma_f32 v110, v1, v39, -v3
	ds_read2st64_b64 v[1:4], v0 offset0:56 offset1:58
	buffer_store_dword v44, off, s[20:23], 0 offset:300 ; 4-byte Folded Spill
	buffer_store_dword v45, off, s[20:23], 0 offset:304 ; 4-byte Folded Spill
	s_waitcnt vmcnt(0)
	buffer_store_dword v41, off, s[20:23], 0 offset:292 ; 4-byte Folded Spill
	buffer_store_dword v42, off, s[20:23], 0 offset:296 ; 4-byte Folded Spill
	s_waitcnt lgkmcnt(0)
	v_mul_f32_e32 v5, v2, v45
	v_mul_f32_e32 v117, v1, v45
	ds_read2st64_b64 v[45:48], v0 offset1:2
	v_fma_f32 v118, v1, v44, -v5
	v_fmac_f32_e32 v117, v2, v44
	v_add_f32_e32 v5, v8, v10
	v_mul_f32_e32 v1, v4, v42
	v_mul_f32_e32 v112, v3, v42
	v_fma_f32 v113, v3, v41, -v1
	v_fmac_f32_e32 v112, v4, v41
	ds_read2st64_b64 v[41:44], v0 offset0:8 offset1:10
	s_waitcnt lgkmcnt(1)
	v_add_f32_e32 v1, v45, v7
	v_add_f32_e32 v56, v1, v9
	;; [unrolled: 1-line block ×3, first 2 shown]
	v_sub_f32_e32 v9, v7, v9
	v_fma_f32 v45, -0.5, v1, v45
	s_waitcnt lgkmcnt(0)
	v_mul_f32_e32 v2, v44, v158
	v_fma_f32 v57, v43, v157, -v2
	v_mul_f32_e32 v43, v43, v158
	v_add_f32_e32 v2, v11, v54
	v_add_f32_e32 v3, v57, v11
	v_fmac_f32_e32 v43, v44, v157
	v_fmac_f32_e32 v57, -0.5, v2
	v_add_f32_e32 v2, v12, v55
	v_sub_f32_e32 v11, v11, v54
	v_add_f32_e32 v54, v3, v54
	v_add_f32_e32 v4, v43, v12
	v_sub_f32_e32 v12, v12, v55
	v_fmac_f32_e32 v43, -0.5, v2
	v_add_f32_e32 v2, v46, v8
	v_sub_f32_e32 v44, v8, v10
	v_fma_f32 v46, -0.5, v5, v46
	v_fmamk_f32 v3, v12, 0x3f5db3d7, v57
	v_add_f32_e32 v55, v4, v55
	v_add_f32_e32 v10, v2, v10
	v_fmamk_f32 v2, v11, 0xbf5db3d7, v43
	v_add_f32_e32 v5, v56, v54
	v_mul_f32_e32 v145, 0xbf5db3d7, v3
	v_fmac_f32_e32 v57, 0xbf5db3d7, v12
	v_add_f32_e32 v6, v10, v55
	v_mul_f32_e32 v58, 0x3f5db3d7, v2
	v_fmac_f32_e32 v43, 0x3f5db3d7, v11
	v_fmac_f32_e32 v145, 0.5, v2
	v_mul_u32_u24_sdwa v2, v94, v146 dst_sel:DWORD dst_unused:UNUSED_PAD src0_sel:WORD_0 src1_sel:DWORD
	v_fmamk_f32 v94, v9, 0xbf5db3d7, v46
	v_fmac_f32_e32 v58, 0.5, v3
	v_fmac_f32_e32 v46, 0x3f5db3d7, v9
	v_mul_f32_e32 v9, -0.5, v57
	v_add_lshl_u32 v147, v2, v93, 3
	v_fmamk_f32 v93, v44, 0x3f5db3d7, v45
	v_add_f32_e32 v8, v94, v145
	ds_read2st64_b64 v[1:4], v0 offset0:4 offset1:6
	v_fmac_f32_e32 v45, 0xbf5db3d7, v44
	buffer_store_dword v147, off, s[20:23], 0 offset:308 ; 4-byte Folded Spill
	v_add_f32_e32 v7, v93, v58
	s_waitcnt lgkmcnt(0)
	s_waitcnt_vscnt null, 0x0
	s_barrier
	buffer_gl0_inv
	v_fmac_f32_e32 v9, 0x3f5db3d7, v43
	ds_write2_b64 v147, v[5:6], v[7:8] offset1:10
	v_sub_f32_e32 v6, v10, v55
	v_mul_f32_e32 v10, -0.5, v43
	v_sub_f32_e32 v5, v56, v54
	v_add_f32_e32 v7, v45, v9
	v_add_f32_e32 v11, v128, v137
	v_sub_f32_e32 v44, v138, v140
	v_fmac_f32_e32 v10, 0xbf5db3d7, v57
	v_sub_f32_e32 v12, v130, v134
	v_add_f32_e32 v11, v11, v139
	v_add_f32_e32 v8, v46, v10
	ds_write2_b64 v147, v[7:8], v[5:6] offset0:20 offset1:30
	v_sub_f32_e32 v5, v93, v58
	v_sub_f32_e32 v6, v94, v145
	;; [unrolled: 1-line block ×6, first 2 shown]
	v_mul_u32_u24_e32 v93, 0x445, v90
	ds_write2_b64 v147, v[5:6], v[7:8] offset0:40 offset1:50
	v_add_f32_e32 v7, v138, v140
	v_add_f32_e32 v5, v130, v134
	;; [unrolled: 1-line block ×4, first 2 shown]
	v_fmac_f32_e32 v127, -0.5, v7
	v_add_f32_e32 v7, v137, v139
	v_fmac_f32_e32 v48, -0.5, v5
	v_add_f32_e32 v5, v47, v133
	v_add_f32_e32 v45, v8, v140
	v_fmamk_f32 v8, v46, 0x3f5db3d7, v127
	v_fmac_f32_e32 v128, -0.5, v7
	v_add_f32_e32 v43, v6, v134
	v_add_f32_e32 v9, v5, v136
	v_add_f32_e32 v5, v133, v136
	v_mul_u32_u24_sdwa v6, v92, v146 dst_sel:DWORD dst_unused:UNUSED_PAD src0_sel:WORD_0 src1_sel:DWORD
	v_fmamk_f32 v7, v44, 0xbf5db3d7, v128
	v_mul_f32_e32 v55, 0xbf5db3d7, v8
	v_fmamk_f32 v56, v10, 0xbf5db3d7, v48
	v_fma_f32 v47, -0.5, v5, v47
	v_add_lshl_u32 v57, v6, v53, 3
	v_mul_f32_e32 v54, 0x3f5db3d7, v7
	v_fmac_f32_e32 v55, 0.5, v7
	v_add_f32_e32 v5, v9, v45
	v_fmamk_f32 v53, v12, 0x3f5db3d7, v47
	v_add_f32_e32 v6, v43, v11
	v_fmac_f32_e32 v54, 0.5, v8
	v_add_f32_e32 v8, v56, v55
	v_fmac_f32_e32 v127, 0xbf5db3d7, v46
	v_fmac_f32_e32 v128, 0x3f5db3d7, v44
	;; [unrolled: 1-line block ×3, first 2 shown]
	v_add_f32_e32 v7, v53, v54
	v_fmac_f32_e32 v47, 0xbf5db3d7, v12
	v_sub_f32_e32 v46, v123, v125
	v_mul_f32_e32 v10, -0.5, v128
	v_add_f32_e32 v12, v129, v132
	ds_write2_b64 v57, v[5:6], v[7:8] offset1:10
	v_sub_f32_e32 v5, v9, v45
	v_mul_f32_e32 v9, -0.5, v127
	v_fmac_f32_e32 v10, 0xbf5db3d7, v127
	v_sub_f32_e32 v6, v43, v11
	v_sub_f32_e32 v45, v124, v126
	;; [unrolled: 1-line block ×3, first 2 shown]
	v_fmac_f32_e32 v9, 0x3f5db3d7, v128
	v_add_f32_e32 v8, v48, v10
	v_fma_f32 v12, -0.5, v12, v2
	buffer_store_dword v57, off, s[20:23], 0 offset:312 ; 4-byte Folded Spill
	v_mul_u32_u24_e32 v92, 0x445, v49
	v_add_f32_e32 v7, v47, v9
	v_lshrrev_b32_e32 v164, 16, v92
	ds_write2_b64 v57, v[7:8], v[5:6] offset0:20 offset1:30
	v_sub_f32_e32 v6, v48, v10
	v_sub_f32_e32 v5, v47, v9
	;; [unrolled: 1-line block ×4, first 2 shown]
	v_add_f32_e32 v9, v119, v124
	v_add_f32_e32 v10, v120, v123
	v_mad_u16 v53, v121, 60, v122
	ds_write2_b64 v57, v[7:8], v[5:6] offset0:40 offset1:50
	v_add_f32_e32 v6, v124, v126
	v_add_f32_e32 v5, v1, v131
	v_sub_f32_e32 v8, v131, v135
	v_add_f32_e32 v9, v9, v126
	v_add_f32_e32 v10, v10, v125
	v_fmac_f32_e32 v119, -0.5, v6
	v_add_f32_e32 v6, v123, v125
	v_add_f32_e32 v7, v5, v135
	;; [unrolled: 1-line block ×3, first 2 shown]
	v_fmamk_f32 v56, v8, 0xbf5db3d7, v12
	v_fmamk_f32 v43, v46, 0x3f5db3d7, v119
	v_fmac_f32_e32 v120, -0.5, v6
	v_add_f32_e32 v6, v2, v129
	v_fma_f32 v54, -0.5, v5, v1
	v_add_f32_e32 v1, v7, v9
	v_mul_f32_e32 v48, 0xbf5db3d7, v43
	v_fmac_f32_e32 v119, 0xbf5db3d7, v46
	v_add_f32_e32 v44, v6, v132
	v_fmamk_f32 v6, v45, 0xbf5db3d7, v120
	v_fmamk_f32 v55, v11, 0x3f5db3d7, v54
	v_fmac_f32_e32 v120, 0x3f5db3d7, v45
	v_fmac_f32_e32 v12, 0x3f5db3d7, v8
	v_add_f32_e32 v2, v44, v10
	v_mul_f32_e32 v47, 0x3f5db3d7, v6
	v_fmac_f32_e32 v48, 0.5, v6
	v_mul_f32_e32 v8, -0.5, v120
	v_fmac_f32_e32 v54, 0xbf5db3d7, v11
	v_sub_f32_e32 v45, v115, v117
	v_fmac_f32_e32 v47, 0.5, v43
	v_mov_b32_e32 v43, 3
	v_add_f32_e32 v6, v56, v48
	v_fmac_f32_e32 v8, 0xbf5db3d7, v119
	v_add_f32_e32 v5, v55, v47
	v_lshlrev_b32_sdwa v53, v43, v53 dst_sel:DWORD dst_unused:UNUSED_PAD src0_sel:DWORD src1_sel:WORD_0
	ds_write2_b64 v53, v[1:2], v[5:6] offset1:10
	v_sub_f32_e32 v1, v7, v9
	v_mul_f32_e32 v7, -0.5, v119
	v_sub_f32_e32 v2, v44, v10
	v_add_f32_e32 v6, v12, v8
	v_add_f32_e32 v9, v108, v115
	v_sub_f32_e32 v10, v101, v111
	v_fmac_f32_e32 v7, 0x3f5db3d7, v120
	buffer_store_dword v53, off, s[20:23], 0 offset:320 ; 4-byte Folded Spill
	v_add_f32_e32 v9, v9, v117
	v_add_f32_e32 v5, v54, v7
	ds_write2_b64 v53, v[5:6], v[1:2] offset0:20 offset1:30
	v_sub_f32_e32 v1, v55, v47
	v_sub_f32_e32 v2, v56, v48
	;; [unrolled: 1-line block ×6, first 2 shown]
	v_mad_u16 v48, v96, 60, v98
	v_lshrrev_b32_e32 v56, 16, v93
	ds_write2_b64 v53, v[1:2], v[5:6] offset0:40 offset1:50
	v_add_f32_e32 v5, v116, v118
	v_add_f32_e32 v1, v101, v111
	;; [unrolled: 1-line block ×4, first 2 shown]
	v_lshlrev_b32_sdwa v48, v43, v48 dst_sel:DWORD dst_unused:UNUSED_PAD src0_sel:DWORD src1_sel:WORD_0
	v_fmac_f32_e32 v107, -0.5, v5
	v_add_f32_e32 v5, v115, v117
	v_fmac_f32_e32 v4, -0.5, v1
	v_add_f32_e32 v1, v3, v103
	v_add_f32_e32 v11, v2, v111
	;; [unrolled: 1-line block ×3, first 2 shown]
	v_fmac_f32_e32 v108, -0.5, v5
	v_fmamk_f32 v5, v45, 0x3f5db3d7, v107
	v_add_f32_e32 v7, v1, v114
	v_add_f32_e32 v1, v103, v114
	v_fmamk_f32 v54, v8, 0xbf5db3d7, v4
	v_fmamk_f32 v2, v12, 0xbf5db3d7, v108
	v_mul_f32_e32 v47, 0xbf5db3d7, v5
	v_fmac_f32_e32 v107, 0xbf5db3d7, v45
	v_fma_f32 v3, -0.5, v1, v3
	v_add_f32_e32 v1, v7, v44
	v_mul_f32_e32 v46, 0x3f5db3d7, v2
	v_fmac_f32_e32 v47, 0.5, v2
	v_add_f32_e32 v2, v11, v9
	v_fmamk_f32 v53, v10, 0x3f5db3d7, v3
	v_fmac_f32_e32 v108, 0x3f5db3d7, v12
	v_fmac_f32_e32 v46, 0.5, v5
	v_add_f32_e32 v6, v54, v47
	v_fmac_f32_e32 v4, 0x3f5db3d7, v8
	v_fmac_f32_e32 v3, 0xbf5db3d7, v10
	v_mul_f32_e32 v8, -0.5, v108
	v_add_f32_e32 v5, v53, v46
	v_sub_f32_e32 v10, v106, v113
	v_sub_f32_e32 v12, v104, v112
	buffer_store_dword v48, off, s[20:23], 0 offset:316 ; 4-byte Folded Spill
	v_fmac_f32_e32 v8, 0xbf5db3d7, v107
	ds_write2_b64 v48, v[1:2], v[5:6] offset1:10
	v_sub_f32_e32 v1, v7, v44
	v_mul_f32_e32 v7, -0.5, v107
	v_sub_f32_e32 v2, v11, v9
	v_add_f32_e32 v6, v4, v8
	v_fmac_f32_e32 v7, 0x3f5db3d7, v108
	v_add_f32_e32 v5, v3, v7
	ds_write2_b64 v48, v[5:6], v[1:2] offset0:20 offset1:30
	v_sub_f32_e32 v2, v4, v8
	v_sub_f32_e32 v1, v3, v7
	;; [unrolled: 1-line block ×4, first 2 shown]
	v_add_f32_e32 v7, v97, v104
	v_sub_f32_e32 v6, v105, v110
	v_sub_f32_e32 v8, v102, v109
	v_mad_u16 v46, v99, 60, v100
	ds_write2_b64 v48, v[3:4], v[1:2] offset0:40 offset1:50
	v_add_f32_e32 v3, v106, v113
	v_add_f32_e32 v1, v102, v109
	;; [unrolled: 1-line block ×5, first 2 shown]
	v_fmac_f32_e32 v95, -0.5, v3
	v_add_f32_e32 v3, v104, v112
	v_fmac_f32_e32 v42, -0.5, v1
	v_add_f32_e32 v1, v41, v105
	v_add_f32_e32 v9, v2, v109
	v_add_f32_e32 v11, v4, v113
	v_fmac_f32_e32 v97, -0.5, v3
	v_fmamk_f32 v3, v12, 0x3f5db3d7, v95
	v_add_f32_e32 v5, v1, v110
	v_add_f32_e32 v1, v105, v110
	v_fmamk_f32 v48, v6, 0xbf5db3d7, v42
	v_fmamk_f32 v2, v10, 0xbf5db3d7, v97
	v_mul_f32_e32 v45, 0xbf5db3d7, v3
	v_lshlrev_b32_sdwa v46, v43, v46 dst_sel:DWORD dst_unused:UNUSED_PAD src0_sel:DWORD src1_sel:WORD_0
	v_fma_f32 v41, -0.5, v1, v41
	v_add_f32_e32 v1, v5, v11
	v_mul_f32_e32 v44, 0x3f5db3d7, v2
	v_fmac_f32_e32 v45, 0.5, v2
	v_add_f32_e32 v2, v9, v7
	v_fmamk_f32 v47, v8, 0x3f5db3d7, v41
	v_fmac_f32_e32 v95, 0xbf5db3d7, v12
	v_fmac_f32_e32 v44, 0.5, v3
	v_add_f32_e32 v4, v48, v45
	v_fmac_f32_e32 v97, 0x3f5db3d7, v10
	v_fmac_f32_e32 v42, 0x3f5db3d7, v6
	v_fmac_f32_e32 v41, 0xbf5db3d7, v8
	v_add_f32_e32 v3, v47, v44
	v_mul_lo_u16 v53, 0x89, v52
	v_mul_f32_e32 v6, -0.5, v97
	buffer_store_dword v46, off, s[20:23], 0 offset:324 ; 4-byte Folded Spill
	ds_write2_b64 v46, v[1:2], v[3:4] offset1:10
	v_sub_f32_e32 v1, v5, v11
	v_mul_f32_e32 v5, -0.5, v95
	v_fmac_f32_e32 v6, 0xbf5db3d7, v95
	v_sub_f32_e32 v2, v9, v7
	v_fmac_f32_e32 v5, 0x3f5db3d7, v97
	v_add_f32_e32 v4, v42, v6
	v_add_f32_e32 v3, v41, v5
	ds_write2_b64 v46, v[3:4], v[1:2] offset0:20 offset1:30
	v_sub_f32_e32 v2, v42, v6
	v_sub_f32_e32 v1, v41, v5
	;; [unrolled: 1-line block ×4, first 2 shown]
	v_mul_lo_u16 v5, 0x89, v230
	v_mul_u32_u24_e32 v48, 0x889, v88
	ds_write2_b64 v46, v[3:4], v[1:2] offset0:40 offset1:50
	v_lshrrev_b16 v2, 13, v53
	v_lshrrev_b16 v9, 13, v5
	v_mul_u32_u24_e32 v5, 0x445, v50
	s_waitcnt lgkmcnt(0)
	s_waitcnt_vscnt null, 0x0
	s_barrier
	v_mul_lo_u16 v1, v2, 60
	buffer_gl0_inv
	v_lshrrev_b32_e32 v10, 16, v5
	v_mul_lo_u16 v5, v9, 60
	v_lshrrev_b32_e32 v172, 17, v48
	v_sub_nc_u16 v3, v52, v1
	v_mul_u32_u24_e32 v1, 0x445, v51
	v_mul_lo_u16 v6, v10, 60
	v_sub_nc_u16 v5, v230, v5
	v_and_b32_e32 v3, 0xff, v3
	v_lshrrev_b32_e32 v1, 16, v1
	v_sub_nc_u16 v11, v50, v6
	v_and_b32_e32 v12, 0xff, v5
	v_lshlrev_b32_e32 v5, 3, v3
	v_mul_lo_u16 v4, v1, 60
	global_load_dwordx2 v[54:55], v5, s[10:11] offset:400
	v_sub_nc_u16 v4, v51, v4
	s_waitcnt vmcnt(0)
	buffer_store_dword v54, off, s[20:23], 0 offset:336 ; 4-byte Folded Spill
	buffer_store_dword v55, off, s[20:23], 0 offset:340 ; 4-byte Folded Spill
	v_lshlrev_b32_sdwa v5, v43, v4 dst_sel:DWORD dst_unused:UNUSED_PAD src0_sel:DWORD src1_sel:WORD_0
	ds_read2st64_b64 v[44:47], v0 offset0:32 offset1:34
	v_mad_u16 v1, 0x78, v1, v4
	global_load_dwordx2 v[41:42], v5, s[10:11] offset:400
	v_lshlrev_b32_sdwa v5, v43, v11 dst_sel:DWORD dst_unused:UNUSED_PAD src0_sel:DWORD src1_sel:WORD_0
	v_lshlrev_b32_sdwa v1, v43, v1 dst_sel:DWORD dst_unused:UNUSED_PAD src0_sel:DWORD src1_sel:WORD_0
	global_load_dwordx2 v[94:95], v5, s[10:11] offset:400
	v_lshlrev_b32_e32 v5, 3, v12
	global_load_dwordx2 v[100:101], v5, s[10:11] offset:400
	s_waitcnt vmcnt(2)
	buffer_store_dword v41, off, s[20:23], 0 offset:328 ; 4-byte Folded Spill
	buffer_store_dword v42, off, s[20:23], 0 offset:332 ; 4-byte Folded Spill
	s_waitcnt lgkmcnt(0)
	v_mul_f32_e32 v5, v45, v55
	v_mul_f32_e32 v8, v44, v55
	v_fma_f32 v7, v44, v54, -v5
	v_fmac_f32_e32 v8, v45, v54
	v_mul_f32_e32 v5, v47, v42
	v_mul_f32_e32 v55, v46, v42
	v_fma_f32 v54, v46, v41, -v5
	v_fmac_f32_e32 v55, v47, v41
	ds_read2st64_b64 v[44:47], v0 offset0:36 offset1:38
	s_waitcnt vmcnt(1)
	buffer_store_dword v94, off, s[20:23], 0 offset:344 ; 4-byte Folded Spill
	buffer_store_dword v95, off, s[20:23], 0 offset:348 ; 4-byte Folded Spill
	v_mul_lo_u16 v5, v56, 60
	v_sub_nc_u16 v57, v90, v5
	s_waitcnt lgkmcnt(0)
	v_mul_f32_e32 v5, v45, v95
	v_mul_f32_e32 v109, v44, v95
	v_mul_u32_u24_e32 v95, 0x445, v89
	v_fma_f32 v58, v44, v94, -v5
	v_fmac_f32_e32 v109, v45, v94
	v_mul_u32_u24_e32 v94, 0x445, v91
	v_lshrrev_b32_e32 v162, 16, v95
	v_lshrrev_b32_e32 v140, 16, v94
	v_mul_lo_u16 v5, v140, 60
	v_sub_nc_u16 v161, v91, v5
	v_mul_lo_u16 v5, v162, 60
	v_sub_nc_u16 v163, v89, v5
	;; [unrolled: 2-line block ×3, first 2 shown]
	v_lshlrev_b32_sdwa v5, v43, v57 dst_sel:DWORD dst_unused:UNUSED_PAD src0_sel:DWORD src1_sel:WORD_0
	global_load_dwordx2 v[44:45], v5, s[10:11] offset:400
	v_lshlrev_b32_sdwa v5, v43, v161 dst_sel:DWORD dst_unused:UNUSED_PAD src0_sel:DWORD src1_sel:WORD_0
	s_waitcnt vmcnt(0)
	buffer_store_dword v44, off, s[20:23], 0 offset:368 ; 4-byte Folded Spill
	buffer_store_dword v45, off, s[20:23], 0 offset:372 ; 4-byte Folded Spill
	global_load_dwordx2 v[98:99], v5, s[10:11] offset:400
	v_lshlrev_b32_sdwa v5, v43, v163 dst_sel:DWORD dst_unused:UNUSED_PAD src0_sel:DWORD src1_sel:WORD_0
	s_waitcnt vmcnt(0)
	buffer_store_dword v98, off, s[20:23], 0 offset:360 ; 4-byte Folded Spill
	buffer_store_dword v99, off, s[20:23], 0 offset:364 ; 4-byte Folded Spill
	global_load_dwordx2 v[96:97], v5, s[10:11] offset:400
	v_lshlrev_b32_sdwa v5, v43, v165 dst_sel:DWORD dst_unused:UNUSED_PAD src0_sel:DWORD src1_sel:WORD_0
	v_mul_f32_e32 v115, v46, v45
	global_load_dwordx2 v[41:42], v5, s[10:11] offset:400
	v_mul_f32_e32 v5, v47, v45
	v_fmac_f32_e32 v115, v47, v44
	v_fma_f32 v114, v46, v44, -v5
	ds_read2st64_b64 v[44:47], v0 offset0:40 offset1:42
	s_waitcnt vmcnt(1)
	buffer_store_dword v96, off, s[20:23], 0 offset:352 ; 4-byte Folded Spill
	buffer_store_dword v97, off, s[20:23], 0 offset:356 ; 4-byte Folded Spill
	s_waitcnt lgkmcnt(0)
	v_mul_f32_e32 v5, v45, v99
	v_mul_f32_e32 v117, v44, v99
	v_fma_f32 v116, v44, v98, -v5
	v_fmac_f32_e32 v117, v45, v98
	v_mul_u32_u24_e32 v45, 0x889, v86
	v_mul_u32_u24_e32 v44, 0x889, v84
	v_lshrrev_b32_e32 v166, 17, v45
	v_lshrrev_b32_e32 v178, 17, v44
	v_mul_f32_e32 v5, v47, v97
	v_mul_f32_e32 v123, v46, v97
	v_fma_f32 v122, v46, v96, -v5
	v_fmac_f32_e32 v123, v47, v96
	ds_read2st64_b64 v[96:99], v0 offset0:44 offset1:46
	s_waitcnt vmcnt(0)
	buffer_store_dword v41, off, s[20:23], 0 offset:376 ; 4-byte Folded Spill
	buffer_store_dword v42, off, s[20:23], 0 offset:380 ; 4-byte Folded Spill
	v_mul_lo_u16 v5, v166, 60
	v_mul_u32_u24_e32 v46, 0x889, v85
	v_mul_u32_u24_e32 v47, 0x889, v87
	v_sub_nc_u16 v167, v86, v5
	v_lshrrev_b32_e32 v168, 17, v46
	v_lshrrev_b32_e32 v170, 17, v47
	s_waitcnt lgkmcnt(0)
	v_mul_f32_e32 v5, v97, v42
	v_mul_f32_e32 v125, v96, v42
	v_fma_f32 v124, v96, v41, -v5
	v_mul_lo_u16 v5, v168, 60
	v_fmac_f32_e32 v125, v97, v41
	v_sub_nc_u16 v169, v85, v5
	v_mul_lo_u16 v5, v170, 60
	v_sub_nc_u16 v171, v87, v5
	v_mul_lo_u16 v5, v172, 60
	v_sub_nc_u16 v173, v88, v5
	v_lshlrev_b32_sdwa v5, v43, v167 dst_sel:DWORD dst_unused:UNUSED_PAD src0_sel:DWORD src1_sel:WORD_0
	global_load_dwordx2 v[96:97], v5, s[10:11] offset:400
	v_lshlrev_b32_sdwa v5, v43, v169 dst_sel:DWORD dst_unused:UNUSED_PAD src0_sel:DWORD src1_sel:WORD_0
	s_waitcnt vmcnt(0)
	buffer_store_dword v96, off, s[20:23], 0 offset:400 ; 4-byte Folded Spill
	buffer_store_dword v97, off, s[20:23], 0 offset:404 ; 4-byte Folded Spill
	global_load_dwordx2 v[104:105], v5, s[10:11] offset:400
	v_lshlrev_b32_sdwa v5, v43, v171 dst_sel:DWORD dst_unused:UNUSED_PAD src0_sel:DWORD src1_sel:WORD_0
	s_waitcnt vmcnt(0)
	buffer_store_dword v104, off, s[20:23], 0 offset:392 ; 4-byte Folded Spill
	buffer_store_dword v105, off, s[20:23], 0 offset:396 ; 4-byte Folded Spill
	global_load_dwordx2 v[41:42], v5, s[10:11] offset:400
	v_lshlrev_b32_sdwa v5, v43, v173 dst_sel:DWORD dst_unused:UNUSED_PAD src0_sel:DWORD src1_sel:WORD_0
	v_mul_f32_e32 v131, v98, v97
	global_load_dwordx2 v[102:103], v5, s[10:11] offset:400
	v_mul_f32_e32 v5, v99, v97
	v_fmac_f32_e32 v131, v99, v96
	v_fma_f32 v130, v98, v96, -v5
	ds_read2st64_b64 v[96:99], v0 offset0:48 offset1:50
	s_waitcnt vmcnt(1)
	buffer_store_dword v41, off, s[20:23], 0 offset:384 ; 4-byte Folded Spill
	buffer_store_dword v42, off, s[20:23], 0 offset:388 ; 4-byte Folded Spill
	s_waitcnt lgkmcnt(0)
	v_mul_f32_e32 v5, v97, v105
	v_mul_f32_e32 v133, v96, v105
	v_fma_f32 v132, v96, v104, -v5
	v_fmac_f32_e32 v133, v97, v104
	v_mul_f32_e32 v5, v99, v42
	v_mul_f32_e32 v139, v98, v42
	v_mul_u32_u24_e32 v42, 0x889, v83
	v_fma_f32 v138, v98, v41, -v5
	v_fmac_f32_e32 v139, v99, v41
	ds_read2st64_b64 v[96:99], v0 offset0:52 offset1:54
	s_waitcnt vmcnt(0)
	buffer_store_dword v102, off, s[20:23], 0 offset:408 ; 4-byte Folded Spill
	buffer_store_dword v103, off, s[20:23], 0 offset:412 ; 4-byte Folded Spill
	v_mul_u32_u24_e32 v41, 0x889, v82
	v_lshrrev_b32_e32 v176, 17, v42
	v_lshrrev_b32_e32 v174, 17, v41
	s_waitcnt lgkmcnt(0)
	v_mul_f32_e32 v5, v97, v103
	v_mul_f32_e32 v146, v96, v103
	v_fma_f32 v145, v96, v102, -v5
	v_mul_lo_u16 v5, v174, 60
	v_fmac_f32_e32 v146, v97, v102
	v_sub_nc_u16 v175, v82, v5
	v_mul_lo_u16 v5, v176, 60
	v_sub_nc_u16 v177, v83, v5
	v_mul_lo_u16 v5, v178, 60
	v_sub_nc_u16 v179, v84, v5
	v_lshlrev_b32_sdwa v5, v43, v175 dst_sel:DWORD dst_unused:UNUSED_PAD src0_sel:DWORD src1_sel:WORD_0
	global_load_dwordx2 v[96:97], v5, s[10:11] offset:400
	v_lshlrev_b32_sdwa v5, v43, v177 dst_sel:DWORD dst_unused:UNUSED_PAD src0_sel:DWORD src1_sel:WORD_0
	s_waitcnt vmcnt(0)
	buffer_store_dword v96, off, s[20:23], 0 offset:448 ; 4-byte Folded Spill
	buffer_store_dword v97, off, s[20:23], 0 offset:452 ; 4-byte Folded Spill
	global_load_dwordx2 v[104:105], v5, s[10:11] offset:400
	v_lshlrev_b32_sdwa v5, v43, v179 dst_sel:DWORD dst_unused:UNUSED_PAD src0_sel:DWORD src1_sel:WORD_0
	s_waitcnt vmcnt(0)
	buffer_store_dword v104, off, s[20:23], 0 offset:436 ; 4-byte Folded Spill
	buffer_store_dword v105, off, s[20:23], 0 offset:440 ; 4-byte Folded Spill
	global_load_dwordx2 v[102:103], v5, s[10:11] offset:400
	v_mul_f32_e32 v5, v99, v97
	v_mul_f32_e32 v152, v98, v97
	v_fma_f32 v151, v98, v96, -v5
	v_fmac_f32_e32 v152, v99, v96
	ds_read2st64_b64 v[96:99], v0 offset0:56 offset1:58
	s_waitcnt vmcnt(0)
	buffer_store_dword v102, off, s[20:23], 0 offset:428 ; 4-byte Folded Spill
	buffer_store_dword v103, off, s[20:23], 0 offset:432 ; 4-byte Folded Spill
	s_waitcnt lgkmcnt(0)
	v_mul_f32_e32 v5, v97, v105
	v_mul_f32_e32 v154, v96, v105
	v_fma_f32 v153, v96, v104, -v5
	v_fmac_f32_e32 v154, v97, v104
	v_mul_f32_e32 v5, v99, v103
	v_mul_f32_e32 v156, v98, v103
	v_fma_f32 v155, v98, v102, -v5
	v_fmac_f32_e32 v156, v99, v102
	ds_read2st64_b64 v[96:99], v0 offset0:28 offset1:30
	buffer_store_dword v100, off, s[20:23], 0 offset:416 ; 4-byte Folded Spill
	buffer_store_dword v101, off, s[20:23], 0 offset:420 ; 4-byte Folded Spill
	s_waitcnt lgkmcnt(0)
	v_sub_f32_e32 v155, v96, v155
	v_sub_f32_e32 v156, v97, v156
	v_fma_f32 v96, v96, 2.0, -v155
	v_fma_f32 v97, v97, 2.0, -v156
	v_mul_f32_e32 v5, v99, v101
	v_mul_f32_e32 v6, v98, v101
	v_fma_f32 v5, v98, v100, -v5
	v_fmac_f32_e32 v6, v99, v100
	ds_read2st64_b64 v[98:101], v0 offset1:2
	s_waitcnt lgkmcnt(0)
	v_sub_f32_e32 v5, v98, v5
	v_sub_f32_e32 v6, v99, v6
	v_sub_f32_e32 v7, v100, v7
	v_sub_f32_e32 v8, v101, v8
	v_fma_f32 v102, v98, 2.0, -v5
	v_fma_f32 v103, v99, 2.0, -v6
	;; [unrolled: 1-line block ×4, first 2 shown]
	ds_read2st64_b64 v[98:101], v0 offset0:4 offset1:6
	s_waitcnt lgkmcnt(0)
	v_sub_f32_e32 v106, v98, v54
	v_sub_f32_e32 v107, v99, v55
	;; [unrolled: 1-line block ×4, first 2 shown]
	v_mov_b32_e32 v54, 0x78
	v_fma_f32 v110, v98, 2.0, -v106
	v_fma_f32 v111, v99, 2.0, -v107
	;; [unrolled: 1-line block ×4, first 2 shown]
	ds_read2st64_b64 v[98:101], v0 offset0:8 offset1:10
	v_mul_u32_u24_sdwa v9, v9, v54 dst_sel:DWORD dst_unused:UNUSED_PAD src0_sel:WORD_0 src1_sel:DWORD
	v_mul_u32_u24_sdwa v2, v2, v54 dst_sel:DWORD dst_unused:UNUSED_PAD src0_sel:WORD_0 src1_sel:DWORD
	v_lshrrev_b32_e32 v58, 17, v94
	v_add_lshl_u32 v9, v9, v12, 3
	v_add_lshl_u32 v2, v2, v3, 3
	v_mul_u32_u24_e32 v3, 0x223, v51
	buffer_store_dword v9, off, s[20:23], 0 offset:488 ; 4-byte Folded Spill
	s_waitcnt lgkmcnt(0)
	v_sub_f32_e32 v114, v98, v114
	v_sub_f32_e32 v115, v99, v115
	v_sub_f32_e32 v116, v100, v116
	v_sub_f32_e32 v117, v101, v117
	v_fma_f32 v118, v98, 2.0, -v114
	v_fma_f32 v119, v99, 2.0, -v115
	v_fma_f32 v120, v100, 2.0, -v116
	v_fma_f32 v121, v101, 2.0, -v117
	ds_read2st64_b64 v[98:101], v0 offset0:12 offset1:14
	s_waitcnt lgkmcnt(0)
	v_sub_f32_e32 v122, v98, v122
	v_sub_f32_e32 v123, v99, v123
	v_sub_f32_e32 v124, v100, v124
	v_sub_f32_e32 v125, v101, v125
	v_fma_f32 v126, v98, 2.0, -v122
	v_fma_f32 v127, v99, 2.0, -v123
	v_fma_f32 v128, v100, 2.0, -v124
	v_fma_f32 v129, v101, 2.0, -v125
	ds_read2st64_b64 v[98:101], v0 offset0:16 offset1:18
	s_waitcnt lgkmcnt(0)
	v_sub_f32_e32 v130, v98, v130
	v_sub_f32_e32 v131, v99, v131
	v_sub_f32_e32 v132, v100, v132
	v_sub_f32_e32 v133, v101, v133
	v_fma_f32 v134, v98, 2.0, -v130
	v_fma_f32 v135, v99, 2.0, -v131
	v_fma_f32 v136, v100, 2.0, -v132
	v_fma_f32 v137, v101, 2.0, -v133
	ds_read2st64_b64 v[98:101], v0 offset0:20 offset1:22
	s_waitcnt lgkmcnt(0)
	v_sub_f32_e32 v138, v98, v138
	v_sub_f32_e32 v139, v99, v139
	v_sub_f32_e32 v145, v100, v145
	v_sub_f32_e32 v146, v101, v146
	v_fma_f32 v147, v98, 2.0, -v138
	v_fma_f32 v148, v99, 2.0, -v139
	v_fma_f32 v149, v100, 2.0, -v145
	v_fma_f32 v150, v101, 2.0, -v146
	ds_read2st64_b64 v[98:101], v0 offset0:24 offset1:26
	s_waitcnt lgkmcnt(0)
	s_waitcnt_vscnt null, 0x0
	s_barrier
	buffer_gl0_inv
	ds_write2_b64 v9, v[102:103], v[5:6] offset1:60
	ds_write2_b64 v2, v[104:105], v[7:8] offset1:60
	buffer_store_dword v1, off, s[20:23], 0 offset:480 ; 4-byte Folded Spill
	ds_write2_b64 v1, v[110:111], v[106:107] offset1:60
	v_mad_u16 v1, 0x78, v10, v11
	buffer_store_dword v2, off, s[20:23], 0 offset:484 ; 4-byte Folded Spill
	v_lshrrev_b16 v8, 14, v53
	v_mul_u32_u24_e32 v10, 0x223, v50
	v_lshlrev_b32_sdwa v1, v43, v1 dst_sel:DWORD dst_unused:UNUSED_PAD src0_sel:DWORD src1_sel:WORD_0
	v_lshrrev_b32_e32 v11, 16, v10
	buffer_store_dword v1, off, s[20:23], 0 offset:472 ; 4-byte Folded Spill
	ds_write2_b64 v1, v[112:113], v[108:109] offset1:60
	v_mad_u16 v1, 0x78, v56, v57
	v_sub_f32_e32 v151, v98, v151
	v_sub_f32_e32 v152, v99, v152
	;; [unrolled: 1-line block ×4, first 2 shown]
	v_lshlrev_b32_sdwa v1, v43, v1 dst_sel:DWORD dst_unused:UNUSED_PAD src0_sel:DWORD src1_sel:WORD_0
	v_fma_f32 v98, v98, 2.0, -v151
	v_fma_f32 v99, v99, 2.0, -v152
	;; [unrolled: 1-line block ×4, first 2 shown]
	buffer_store_dword v1, off, s[20:23], 0 offset:468 ; 4-byte Folded Spill
	ds_write2_b64 v1, v[118:119], v[114:115] offset1:60
	v_mad_u16 v1, 0x78, v140, v161
	v_lshrrev_b32_e32 v161, 17, v95
	v_lshlrev_b32_sdwa v1, v43, v1 dst_sel:DWORD dst_unused:UNUSED_PAD src0_sel:DWORD src1_sel:WORD_0
	buffer_store_dword v1, off, s[20:23], 0 offset:464 ; 4-byte Folded Spill
	ds_write2_b64 v1, v[120:121], v[116:117] offset1:60
	v_mad_u16 v1, 0x78, v162, v163
	v_lshrrev_b32_e32 v163, 17, v92
	v_lshlrev_b32_sdwa v1, v43, v1 dst_sel:DWORD dst_unused:UNUSED_PAD src0_sel:DWORD src1_sel:WORD_0
	;; [unrolled: 5-line block ×9, first 2 shown]
	buffer_store_dword v1, off, s[20:23], 0 offset:500 ; 4-byte Folded Spill
	ds_write2_b64 v1, v[100:101], v[153:154] offset1:60
	v_mad_u16 v1, 0x78, v178, v179
	v_lshlrev_b32_sdwa v1, v43, v1 dst_sel:DWORD dst_unused:UNUSED_PAD src0_sel:DWORD src1_sel:WORD_0
	buffer_store_dword v1, off, s[20:23], 0 offset:496 ; 4-byte Folded Spill
	ds_write2_b64 v1, v[96:97], v[155:156] offset1:60
	v_add_co_u32 v1, s8, 0xffffff88, v230
	v_add_co_ci_u32_e64 v2, null, 0, -1, s8
	s_waitcnt lgkmcnt(0)
	s_waitcnt_vscnt null, 0x0
	v_cndmask_b32_e32 v5, v1, v230, vcc_lo
	s_barrier
	v_cndmask_b32_e64 v6, v2, 0, vcc_lo
	buffer_gl0_inv
	v_lshlrev_b64 v[1:2], 3, v[5:6]
	v_lshrrev_b32_e32 v6, 16, v3
	v_mul_lo_u16 v3, 0x78, v6
	v_add_co_u32 v1, vcc_lo, s10, v1
	v_add_co_ci_u32_e32 v2, vcc_lo, s11, v2, vcc_lo
	v_sub_nc_u16 v7, v51, v3
	v_mul_lo_u16 v3, 0x78, v8
	v_cmp_lt_u32_e32 vcc_lo, 0x77, v230
	v_sub_nc_u16 v3, v52, v3
	v_and_b32_e32 v9, 0xff, v3
	v_mul_lo_u16 v3, 0x78, v11
	v_sub_nc_u16 v12, v50, v3
	v_lshlrev_b32_sdwa v3, v43, v7 dst_sel:DWORD dst_unused:UNUSED_PAD src0_sel:DWORD src1_sel:WORD_0
	v_lshlrev_b32_sdwa v4, v43, v12 dst_sel:DWORD dst_unused:UNUSED_PAD src0_sel:DWORD src1_sel:WORD_0
	s_clause 0x2
	global_load_dwordx2 v[54:55], v3, s[10:11] offset:880
	global_load_dwordx2 v[99:100], v4, s[10:11] offset:880
	global_load_dwordx2 v[97:98], v[1:2], off offset:880
	v_lshlrev_b32_e32 v1, 3, v9
	global_load_dwordx2 v[56:57], v1, s[10:11] offset:880
	s_waitcnt vmcnt(0)
	buffer_store_dword v56, off, s[20:23], 0 offset:516 ; 4-byte Folded Spill
	buffer_store_dword v57, off, s[20:23], 0 offset:520 ; 4-byte Folded Spill
	ds_read2st64_b64 v[1:4], v0 offset0:32 offset1:34
	s_waitcnt lgkmcnt(0)
	v_mul_f32_e32 v51, v2, v57
	v_mul_f32_e32 v53, v1, v57
	v_fma_f32 v51, v1, v56, -v51
	v_fmac_f32_e32 v53, v2, v56
	v_mov_b32_e32 v57, v55
	v_mov_b32_e32 v56, v54
	buffer_store_dword v56, off, s[20:23], 0 offset:508 ; 4-byte Folded Spill
	buffer_store_dword v57, off, s[20:23], 0 offset:512 ; 4-byte Folded Spill
	v_mul_f32_e32 v1, v4, v57
	v_mul_f32_e32 v55, v3, v57
	v_fma_f32 v54, v3, v56, -v1
	v_fmac_f32_e32 v55, v4, v56
	v_lshrrev_b32_e32 v56, 17, v93
	v_mul_lo_u16 v1, 0x78, v56
	v_sub_nc_u16 v57, v90, v1
	v_mul_lo_u16 v1, 0x78, v58
	v_sub_nc_u16 v140, v91, v1
	;; [unrolled: 2-line block ×4, first 2 shown]
	ds_read2st64_b64 v[1:4], v0 offset0:36 offset1:38
	buffer_store_dword v99, off, s[20:23], 0 offset:540 ; 4-byte Folded Spill
	buffer_store_dword v100, off, s[20:23], 0 offset:544 ; 4-byte Folded Spill
	s_waitcnt lgkmcnt(0)
	v_mul_f32_e32 v96, v2, v100
	v_mul_f32_e32 v109, v1, v100
	v_fma_f32 v108, v1, v99, -v96
	v_lshlrev_b32_sdwa v1, v43, v57 dst_sel:DWORD dst_unused:UNUSED_PAD src0_sel:DWORD src1_sel:WORD_0
	v_fmac_f32_e32 v109, v2, v99
	global_load_dwordx2 v[105:106], v1, s[10:11] offset:880
	v_lshlrev_b32_sdwa v1, v43, v140 dst_sel:DWORD dst_unused:UNUSED_PAD src0_sel:DWORD src1_sel:WORD_0
	s_waitcnt vmcnt(0)
	buffer_store_dword v105, off, s[20:23], 0 offset:588 ; 4-byte Folded Spill
	buffer_store_dword v106, off, s[20:23], 0 offset:592 ; 4-byte Folded Spill
	global_load_dwordx2 v[103:104], v1, s[10:11] offset:880
	v_lshlrev_b32_sdwa v1, v43, v162 dst_sel:DWORD dst_unused:UNUSED_PAD src0_sel:DWORD src1_sel:WORD_0
	s_waitcnt vmcnt(0)
	buffer_store_dword v103, off, s[20:23], 0 offset:568 ; 4-byte Folded Spill
	buffer_store_dword v104, off, s[20:23], 0 offset:572 ; 4-byte Folded Spill
	global_load_dwordx2 v[99:100], v1, s[10:11] offset:880
	v_lshlrev_b32_sdwa v1, v43, v164 dst_sel:DWORD dst_unused:UNUSED_PAD src0_sel:DWORD src1_sel:WORD_0
	v_mul_f32_e32 v115, v3, v106
	global_load_dwordx2 v[101:102], v1, s[10:11] offset:880
	v_mul_f32_e32 v1, v4, v106
	v_fmac_f32_e32 v115, v4, v105
	v_fma_f32 v114, v3, v105, -v1
	ds_read2st64_b64 v[1:4], v0 offset0:40 offset1:42
	s_waitcnt vmcnt(1)
	buffer_store_dword v99, off, s[20:23], 0 offset:560 ; 4-byte Folded Spill
	buffer_store_dword v100, off, s[20:23], 0 offset:564 ; 4-byte Folded Spill
	s_waitcnt lgkmcnt(0)
	v_mul_f32_e32 v96, v2, v104
	v_mul_f32_e32 v117, v1, v104
	v_fma_f32 v116, v1, v103, -v96
	v_fmac_f32_e32 v117, v2, v103
	v_mul_f32_e32 v1, v4, v100
	v_mul_f32_e32 v123, v3, v100
	v_fma_f32 v122, v3, v99, -v1
	v_fmac_f32_e32 v123, v4, v99
	ds_read2st64_b64 v[1:4], v0 offset0:44 offset1:46
	s_waitcnt vmcnt(0)
	buffer_store_dword v101, off, s[20:23], 0 offset:580 ; 4-byte Folded Spill
	buffer_store_dword v102, off, s[20:23], 0 offset:584 ; 4-byte Folded Spill
	s_waitcnt lgkmcnt(0)
	v_mul_f32_e32 v96, v2, v102
	v_mul_f32_e32 v125, v1, v102
	v_fma_f32 v124, v1, v101, -v96
	v_mul_lo_u16 v1, 0x78, v167
	v_mul_lo_u16 v96, 0x78, v165
	v_fmac_f32_e32 v125, v2, v101
	v_sub_nc_u16 v168, v85, v1
	v_mul_lo_u16 v1, 0x78, v169
	v_sub_nc_u16 v166, v86, v96
	v_sub_nc_u16 v170, v87, v1
	v_mul_lo_u16 v1, 0x78, v171
	v_sub_nc_u16 v172, v88, v1
	v_lshlrev_b32_sdwa v1, v43, v166 dst_sel:DWORD dst_unused:UNUSED_PAD src0_sel:DWORD src1_sel:WORD_0
	global_load_dwordx2 v[105:106], v1, s[10:11] offset:880
	v_lshlrev_b32_sdwa v1, v43, v168 dst_sel:DWORD dst_unused:UNUSED_PAD src0_sel:DWORD src1_sel:WORD_0
	s_waitcnt vmcnt(0)
	buffer_store_dword v105, off, s[20:23], 0 offset:620 ; 4-byte Folded Spill
	buffer_store_dword v106, off, s[20:23], 0 offset:624 ; 4-byte Folded Spill
	global_load_dwordx2 v[103:104], v1, s[10:11] offset:880
	v_lshlrev_b32_sdwa v1, v43, v170 dst_sel:DWORD dst_unused:UNUSED_PAD src0_sel:DWORD src1_sel:WORD_0
	s_waitcnt vmcnt(0)
	buffer_store_dword v103, off, s[20:23], 0 offset:604 ; 4-byte Folded Spill
	buffer_store_dword v104, off, s[20:23], 0 offset:608 ; 4-byte Folded Spill
	global_load_dwordx2 v[99:100], v1, s[10:11] offset:880
	v_lshlrev_b32_sdwa v1, v43, v172 dst_sel:DWORD dst_unused:UNUSED_PAD src0_sel:DWORD src1_sel:WORD_0
	v_mul_f32_e32 v131, v3, v106
	global_load_dwordx2 v[101:102], v1, s[10:11] offset:880
	v_mul_f32_e32 v1, v4, v106
	v_fmac_f32_e32 v131, v4, v105
	v_fma_f32 v130, v3, v105, -v1
	ds_read2st64_b64 v[1:4], v0 offset0:48 offset1:50
	s_waitcnt vmcnt(1)
	buffer_store_dword v99, off, s[20:23], 0 offset:596 ; 4-byte Folded Spill
	buffer_store_dword v100, off, s[20:23], 0 offset:600 ; 4-byte Folded Spill
	s_waitcnt lgkmcnt(0)
	v_mul_f32_e32 v96, v2, v104
	v_mul_f32_e32 v133, v1, v104
	v_fma_f32 v132, v1, v103, -v96
	v_fmac_f32_e32 v133, v2, v103
	v_mul_f32_e32 v1, v4, v100
	v_mul_f32_e32 v139, v3, v100
	v_fma_f32 v138, v3, v99, -v1
	v_fmac_f32_e32 v139, v4, v99
	ds_read2st64_b64 v[1:4], v0 offset0:52 offset1:54
	s_waitcnt vmcnt(0)
	buffer_store_dword v101, off, s[20:23], 0 offset:612 ; 4-byte Folded Spill
	buffer_store_dword v102, off, s[20:23], 0 offset:616 ; 4-byte Folded Spill
	s_waitcnt lgkmcnt(0)
	v_mul_f32_e32 v96, v2, v102
	v_mul_f32_e32 v146, v1, v102
	v_fma_f32 v145, v1, v101, -v96
	v_mul_lo_u16 v96, 0x78, v173
	v_mul_lo_u16 v1, 0x78, v175
	v_fmac_f32_e32 v146, v2, v101
	v_sub_nc_u16 v174, v82, v96
	v_sub_nc_u16 v176, v83, v1
	v_mul_lo_u16 v1, 0x78, v177
	v_sub_nc_u16 v178, v84, v1
	v_lshlrev_b32_sdwa v1, v43, v174 dst_sel:DWORD dst_unused:UNUSED_PAD src0_sel:DWORD src1_sel:WORD_0
	global_load_dwordx2 v[101:102], v1, s[10:11] offset:880
	v_lshlrev_b32_sdwa v1, v43, v176 dst_sel:DWORD dst_unused:UNUSED_PAD src0_sel:DWORD src1_sel:WORD_0
	s_waitcnt vmcnt(0)
	buffer_store_dword v101, off, s[20:23], 0 offset:652 ; 4-byte Folded Spill
	buffer_store_dword v102, off, s[20:23], 0 offset:656 ; 4-byte Folded Spill
	global_load_dwordx2 v[103:104], v1, s[10:11] offset:880
	v_lshlrev_b32_sdwa v1, v43, v178 dst_sel:DWORD dst_unused:UNUSED_PAD src0_sel:DWORD src1_sel:WORD_0
	global_load_dwordx2 v[99:100], v1, s[10:11] offset:880
	v_mul_f32_e32 v1, v4, v102
	v_mul_f32_e32 v152, v3, v102
	v_fma_f32 v151, v3, v101, -v1
	v_fmac_f32_e32 v152, v4, v101
	ds_read2st64_b64 v[1:4], v0 offset0:56 offset1:58
	s_waitcnt vmcnt(1)
	buffer_store_dword v103, off, s[20:23], 0 offset:644 ; 4-byte Folded Spill
	buffer_store_dword v104, off, s[20:23], 0 offset:648 ; 4-byte Folded Spill
	s_waitcnt vmcnt(0)
	buffer_store_dword v99, off, s[20:23], 0 offset:636 ; 4-byte Folded Spill
	buffer_store_dword v100, off, s[20:23], 0 offset:640 ; 4-byte Folded Spill
	s_waitcnt lgkmcnt(0)
	v_mul_f32_e32 v96, v2, v104
	v_mul_f32_e32 v154, v1, v104
	;; [unrolled: 1-line block ×3, first 2 shown]
	v_fma_f32 v153, v1, v103, -v96
	v_mul_f32_e32 v1, v4, v100
	v_fmac_f32_e32 v154, v2, v103
	v_fmac_f32_e32 v156, v4, v99
	v_fma_f32 v155, v3, v99, -v1
	ds_read2st64_b64 v[1:4], v0 offset0:28 offset1:30
	buffer_store_dword v97, off, s[20:23], 0 offset:628 ; 4-byte Folded Spill
	buffer_store_dword v98, off, s[20:23], 0 offset:632 ; 4-byte Folded Spill
	s_waitcnt lgkmcnt(0)
	v_sub_f32_e32 v155, v1, v155
	v_sub_f32_e32 v156, v2, v156
	v_fma_f32 v1, v1, 2.0, -v155
	v_fma_f32 v2, v2, 2.0, -v156
	v_mul_f32_e32 v96, v4, v98
	v_mul_f32_e32 v101, v3, v98
	v_fma_f32 v100, v3, v97, -v96
	v_fmac_f32_e32 v101, v4, v97
	ds_read2st64_b64 v[96:99], v0 offset1:2
	s_waitcnt lgkmcnt(0)
	v_sub_f32_e32 v3, v96, v100
	v_sub_f32_e32 v4, v97, v101
	;; [unrolled: 1-line block ×4, first 2 shown]
	v_cndmask_b32_e64 v51, 0, 0xf0, vcc_lo
	v_fma_f32 v102, v96, 2.0, -v3
	v_fma_f32 v103, v97, 2.0, -v4
	;; [unrolled: 1-line block ×4, first 2 shown]
	ds_read2st64_b64 v[96:99], v0 offset0:4 offset1:6
	v_add_lshl_u32 v5, v5, v51, 3
	v_mov_b32_e32 v51, 0
	buffer_store_dword v5, off, s[20:23], 0 offset:684 ; 4-byte Folded Spill
	v_mov_b32_e32 v53, v51
	v_cmp_gt_u64_e32 vcc_lo, 0xf0, v[52:53]
	s_waitcnt lgkmcnt(0)
	v_sub_f32_e32 v106, v96, v54
	v_sub_f32_e32 v107, v97, v55
	;; [unrolled: 1-line block ×4, first 2 shown]
	v_lshrrev_b32_e32 v55, 18, v92
	v_fma_f32 v110, v96, 2.0, -v106
	v_fma_f32 v111, v97, 2.0, -v107
	v_fma_f32 v112, v98, 2.0, -v108
	v_fma_f32 v113, v99, 2.0, -v109
	ds_read2st64_b64 v[96:99], v0 offset0:8 offset1:10
	s_waitcnt lgkmcnt(0)
	v_sub_f32_e32 v114, v96, v114
	v_sub_f32_e32 v115, v97, v115
	v_sub_f32_e32 v116, v98, v116
	v_sub_f32_e32 v117, v99, v117
	v_fma_f32 v118, v96, 2.0, -v114
	v_fma_f32 v119, v97, 2.0, -v115
	v_fma_f32 v120, v98, 2.0, -v116
	v_fma_f32 v121, v99, 2.0, -v117
	ds_read2st64_b64 v[96:99], v0 offset0:12 offset1:14
	s_waitcnt lgkmcnt(0)
	v_sub_f32_e32 v122, v96, v122
	v_sub_f32_e32 v123, v97, v123
	v_sub_f32_e32 v124, v98, v124
	v_sub_f32_e32 v125, v99, v125
	;; [unrolled: 10-line block ×4, first 2 shown]
	v_fma_f32 v147, v96, 2.0, -v138
	v_fma_f32 v148, v97, 2.0, -v139
	;; [unrolled: 1-line block ×4, first 2 shown]
	ds_read2st64_b64 v[96:99], v0 offset0:24 offset1:26
	s_waitcnt lgkmcnt(0)
	s_waitcnt_vscnt null, 0x0
	s_barrier
	buffer_gl0_inv
	ds_write2_b64 v5, v[102:103], v[3:4] offset1:120
	v_mov_b32_e32 v3, 0xf0
	v_mul_u32_u24_sdwa v3, v8, v3 dst_sel:DWORD dst_unused:UNUSED_PAD src0_sel:WORD_0 src1_sel:DWORD
	v_add_lshl_u32 v3, v3, v9, 3
	buffer_store_dword v3, off, s[20:23], 0 offset:680 ; 4-byte Folded Spill
	ds_write2_b64 v3, v[104:105], v[100:101] offset1:120
	v_mad_u16 v3, 0xf0, v6, v7
	v_sub_f32_e32 v151, v96, v151
	v_sub_f32_e32 v152, v97, v152
	v_sub_f32_e32 v153, v98, v153
	v_sub_f32_e32 v154, v99, v154
	v_lshlrev_b32_sdwa v3, v43, v3 dst_sel:DWORD dst_unused:UNUSED_PAD src0_sel:DWORD src1_sel:WORD_0
	v_fma_f32 v96, v96, 2.0, -v151
	v_fma_f32 v97, v97, 2.0, -v152
	;; [unrolled: 1-line block ×4, first 2 shown]
	buffer_store_dword v3, off, s[20:23], 0 offset:676 ; 4-byte Folded Spill
	ds_write2_b64 v3, v[110:111], v[106:107] offset1:120
	v_mad_u16 v3, 0xf0, v11, v12
	v_lshrrev_b32_e32 v12, 18, v94
	v_lshlrev_b32_sdwa v3, v43, v3 dst_sel:DWORD dst_unused:UNUSED_PAD src0_sel:DWORD src1_sel:WORD_0
	buffer_store_dword v3, off, s[20:23], 0 offset:672 ; 4-byte Folded Spill
	ds_write2_b64 v3, v[112:113], v[108:109] offset1:120
	v_mad_u16 v3, 0xf0, v56, v57
	v_lshlrev_b32_sdwa v3, v43, v3 dst_sel:DWORD dst_unused:UNUSED_PAD src0_sel:DWORD src1_sel:WORD_0
	buffer_store_dword v3, off, s[20:23], 0 offset:668 ; 4-byte Folded Spill
	ds_write2_b64 v3, v[118:119], v[114:115] offset1:120
	v_mad_u16 v3, 0xf0, v58, v140
	;; [unrolled: 4-line block ×3, first 2 shown]
	v_lshrrev_b32_e32 v161, 19, v42
	v_lshlrev_b32_sdwa v3, v43, v3 dst_sel:DWORD dst_unused:UNUSED_PAD src0_sel:DWORD src1_sel:WORD_0
	buffer_store_dword v3, off, s[20:23], 0 offset:660 ; 4-byte Folded Spill
	ds_write2_b64 v3, v[126:127], v[122:123] offset1:120
	v_mad_u16 v3, 0xf0, v163, v164
	v_lshlrev_b32_sdwa v3, v43, v3 dst_sel:DWORD dst_unused:UNUSED_PAD src0_sel:DWORD src1_sel:WORD_0
	buffer_store_dword v3, off, s[20:23], 0 offset:576 ; 4-byte Folded Spill
	ds_write2_b64 v3, v[128:129], v[124:125] offset1:120
	v_mad_u16 v3, 0xf0, v165, v166
	;; [unrolled: 4-line block ×7, first 2 shown]
	v_lshrrev_b32_e32 v151, 19, v46
	v_lshlrev_b32_sdwa v3, v43, v3 dst_sel:DWORD dst_unused:UNUSED_PAD src0_sel:DWORD src1_sel:WORD_0
	buffer_store_dword v3, off, s[20:23], 0 offset:528 ; 4-byte Folded Spill
	ds_write2_b64 v3, v[98:99], v[153:154] offset1:120
	v_mad_u16 v3, 0xf0, v177, v178
	v_lshrrev_b32_e32 v153, 19, v48
	v_lshrrev_b32_e32 v48, 20, v48
	v_lshlrev_b32_sdwa v3, v43, v3 dst_sel:DWORD dst_unused:UNUSED_PAD src0_sel:DWORD src1_sel:WORD_0
	ds_write2_b64 v3, v[1:2], v[155:156] offset1:120
	v_add_co_u32 v1, s8, 0xffffff90, v230
	v_add_co_ci_u32_e64 v2, null, 0, -1, s8
	buffer_store_dword v3, off, s[20:23], 0 offset:524 ; 4-byte Folded Spill
	v_cndmask_b32_e32 v5, v1, v52, vcc_lo
	s_waitcnt lgkmcnt(0)
	s_waitcnt_vscnt null, 0x0
	v_cndmask_b32_e64 v6, v2, 0, vcc_lo
	s_barrier
	buffer_gl0_inv
	v_lshlrev_b64 v[1:2], 3, v[5:6]
	v_lshrrev_b32_e32 v6, 17, v10
	v_add_co_u32 v1, vcc_lo, s10, v1
	v_add_co_ci_u32_e32 v2, vcc_lo, s11, v2, vcc_lo
	v_cmp_lt_u64_e32 vcc_lo, 0xef, v[52:53]
	global_load_dwordx2 v[232:233], v[1:2], off offset:1840
	v_mul_lo_u16 v1, 0xf0, v6
	v_sub_nc_u16 v7, v50, v1
	v_lshlrev_b32_sdwa v1, v43, v7 dst_sel:DWORD dst_unused:UNUSED_PAD src0_sel:DWORD src1_sel:WORD_0
	s_clause 0x1
	global_load_dwordx2 v[234:235], v1, s[10:11] offset:1840
	global_load_dwordx2 v[236:237], v0, s[10:11] offset:1968
	ds_read2st64_b64 v[1:4], v0 offset0:32 offset1:34
	global_load_dwordx2 v[238:239], v0, s[10:11] offset:1840
	s_waitcnt vmcnt(3) lgkmcnt(0)
	v_mul_f32_e32 v8, v2, v233
	v_mul_f32_e32 v9, v1, v233
	v_fma_f32 v8, v1, v232, -v8
	v_fmac_f32_e32 v9, v2, v232
	v_lshrrev_b32_e32 v2, 18, v95
	v_mul_lo_u16 v2, 0xf0, v2
	s_waitcnt vmcnt(1)
	v_mul_f32_e32 v1, v4, v237
	v_mul_f32_e32 v11, v3, v237
	v_sub_nc_u16 v2, v89, v2
	v_fma_f32 v10, v3, v236, -v1
	v_lshrrev_b32_e32 v1, 18, v93
	v_mul_lo_u16 v3, 0xf0, v12
	v_fmac_f32_e32 v11, v4, v236
	v_lshlrev_b32_sdwa v58, v43, v2 dst_sel:DWORD dst_unused:UNUSED_PAD src0_sel:DWORD src1_sel:WORD_0
	v_mul_lo_u16 v1, 0xf0, v1
	v_sub_nc_u16 v54, v91, v3
	v_mul_lo_u16 v3, 0xf0, v55
	v_sub_nc_u16 v1, v90, v1
	v_sub_nc_u16 v56, v49, v3
	v_lshlrev_b32_sdwa v57, v43, v1 dst_sel:DWORD dst_unused:UNUSED_PAD src0_sel:DWORD src1_sel:WORD_0
	ds_read2st64_b64 v[1:4], v0 offset0:36 offset1:38
	s_waitcnt lgkmcnt(0)
	v_mul_f32_e32 v89, v2, v235
	v_mul_f32_e32 v104, v1, v235
	v_fma_f32 v91, v1, v234, -v89
	v_lshlrev_b32_sdwa v1, v43, v56 dst_sel:DWORD dst_unused:UNUSED_PAD src0_sel:DWORD src1_sel:WORD_0
	v_fmac_f32_e32 v104, v2, v234
	v_lshlrev_b32_sdwa v2, v43, v54 dst_sel:DWORD dst_unused:UNUSED_PAD src0_sel:DWORD src1_sel:WORD_0
	s_clause 0x3
	global_load_dwordx2 v[240:241], v1, s[10:11] offset:1840
	global_load_dwordx2 v[250:251], v2, s[10:11] offset:1840
	;; [unrolled: 1-line block ×4, first 2 shown]
	s_waitcnt vmcnt(1)
	v_mul_f32_e32 v1, v4, v203
	v_mul_f32_e32 v110, v3, v203
	v_fma_f32 v109, v3, v202, -v1
	v_fmac_f32_e32 v110, v4, v202
	ds_read2st64_b64 v[1:4], v0 offset0:40 offset1:42
	s_waitcnt lgkmcnt(0)
	v_mul_f32_e32 v89, v2, v251
	v_mul_f32_e32 v112, v1, v251
	s_waitcnt vmcnt(0)
	v_mul_f32_e32 v118, v3, v249
	v_fma_f32 v111, v1, v250, -v89
	v_mul_f32_e32 v1, v4, v249
	v_fmac_f32_e32 v112, v2, v250
	v_lshrrev_b32_e32 v2, 19, v47
	v_fmac_f32_e32 v118, v4, v248
	v_fma_f32 v117, v3, v248, -v1
	v_lshrrev_b32_e32 v1, 19, v45
	v_mul_lo_u16 v2, 0xf0, v2
	v_mul_lo_u16 v3, 0xf0, v151
	;; [unrolled: 1-line block ×3, first 2 shown]
	v_sub_nc_u16 v2, v87, v2
	v_sub_nc_u16 v152, v85, v3
	v_mul_lo_u16 v3, 0xf0, v153
	v_sub_nc_u16 v1, v86, v1
	v_lshlrev_b32_sdwa v156, v43, v2 dst_sel:DWORD dst_unused:UNUSED_PAD src0_sel:DWORD src1_sel:WORD_0
	v_sub_nc_u16 v154, v88, v3
	v_lshlrev_b32_sdwa v155, v43, v1 dst_sel:DWORD dst_unused:UNUSED_PAD src0_sel:DWORD src1_sel:WORD_0
	ds_read2st64_b64 v[1:4], v0 offset0:44 offset1:46
	s_waitcnt lgkmcnt(0)
	v_mul_f32_e32 v89, v2, v241
	v_mul_f32_e32 v120, v1, v241
	v_fma_f32 v119, v1, v240, -v89
	v_lshlrev_b32_sdwa v1, v43, v154 dst_sel:DWORD dst_unused:UNUSED_PAD src0_sel:DWORD src1_sel:WORD_0
	v_fmac_f32_e32 v120, v2, v240
	v_lshlrev_b32_sdwa v2, v43, v152 dst_sel:DWORD dst_unused:UNUSED_PAD src0_sel:DWORD src1_sel:WORD_0
	s_clause 0x3
	global_load_dwordx2 v[242:243], v1, s[10:11] offset:1840
	global_load_dwordx2 v[254:255], v2, s[10:11] offset:1840
	global_load_dwordx2 v[200:201], v155, s[10:11] offset:1840
	global_load_dwordx2 v[252:253], v156, s[10:11] offset:1840
	s_waitcnt vmcnt(1)
	v_mul_f32_e32 v1, v4, v201
	v_mul_f32_e32 v126, v3, v201
	v_fma_f32 v125, v3, v200, -v1
	v_fmac_f32_e32 v126, v4, v200
	ds_read2st64_b64 v[1:4], v0 offset0:48 offset1:50
	s_waitcnt lgkmcnt(0)
	v_mul_f32_e32 v89, v2, v255
	v_mul_f32_e32 v128, v1, v255
	s_waitcnt vmcnt(0)
	v_mul_f32_e32 v134, v3, v253
	v_fma_f32 v127, v1, v254, -v89
	v_mul_f32_e32 v1, v4, v253
	v_fmac_f32_e32 v128, v2, v254
	v_lshrrev_b32_e32 v2, 19, v44
	v_fmac_f32_e32 v134, v4, v252
	v_fma_f32 v133, v3, v252, -v1
	v_lshrrev_b32_e32 v1, 19, v41
	v_mul_lo_u16 v2, 0xf0, v2
	v_mul_lo_u16 v3, 0xf0, v161
	;; [unrolled: 1-line block ×3, first 2 shown]
	v_sub_nc_u16 v2, v84, v2
	v_sub_nc_u16 v162, v83, v3
	;; [unrolled: 1-line block ×3, first 2 shown]
	v_lshlrev_b32_sdwa v164, v43, v2 dst_sel:DWORD dst_unused:UNUSED_PAD src0_sel:DWORD src1_sel:WORD_0
	v_lshlrev_b32_sdwa v163, v43, v1 dst_sel:DWORD dst_unused:UNUSED_PAD src0_sel:DWORD src1_sel:WORD_0
	ds_read2st64_b64 v[1:4], v0 offset0:52 offset1:54
	s_waitcnt lgkmcnt(0)
	v_mul_f32_e32 v89, v2, v243
	v_mul_f32_e32 v136, v1, v243
	v_fma_f32 v135, v1, v242, -v89
	v_lshlrev_b32_sdwa v1, v43, v162 dst_sel:DWORD dst_unused:UNUSED_PAD src0_sel:DWORD src1_sel:WORD_0
	s_clause 0x2
	global_load_dwordx2 v[246:247], v1, s[10:11] offset:1840
	global_load_dwordx2 v[221:222], v163, s[10:11] offset:1840
	;; [unrolled: 1-line block ×3, first 2 shown]
	v_fmac_f32_e32 v136, v2, v242
	ds_read2st64_b64 v[93:96], v0 offset1:2
	s_waitcnt vmcnt(1)
	v_mul_f32_e32 v1, v4, v222
	v_mul_f32_e32 v146, v3, v222
	v_fma_f32 v145, v3, v221, -v1
	v_fmac_f32_e32 v146, v4, v221
	ds_read2st64_b64 v[1:4], v0 offset0:56 offset1:58
	s_waitcnt lgkmcnt(0)
	v_mul_f32_e32 v89, v2, v247
	v_mul_f32_e32 v148, v1, v247
	s_waitcnt vmcnt(0)
	v_mul_f32_e32 v150, v3, v245
	v_fma_f32 v147, v1, v246, -v89
	v_mul_f32_e32 v1, v4, v245
	v_fmac_f32_e32 v148, v2, v246
	v_fmac_f32_e32 v150, v4, v244
	v_fma_f32 v149, v3, v244, -v1
	ds_read2st64_b64 v[1:4], v0 offset0:28 offset1:30
	s_waitcnt lgkmcnt(0)
	v_mul_f32_e32 v89, v4, v239
	v_mul_f32_e32 v90, v3, v239
	v_sub_f32_e32 v149, v1, v149
	v_sub_f32_e32 v150, v2, v150
	v_fma_f32 v89, v3, v238, -v89
	v_fmac_f32_e32 v90, v4, v238
	v_fma_f32 v1, v1, 2.0, -v149
	v_fma_f32 v2, v2, 2.0, -v150
	v_sub_f32_e32 v3, v93, v89
	v_sub_f32_e32 v4, v94, v90
	v_sub_f32_e32 v89, v95, v8
	v_sub_f32_e32 v90, v96, v9
	v_fma_f32 v97, v93, 2.0, -v3
	v_fma_f32 v98, v94, 2.0, -v4
	v_fma_f32 v99, v95, 2.0, -v89
	v_fma_f32 v100, v96, 2.0, -v90
	ds_read2st64_b64 v[93:96], v0 offset0:4 offset1:6
	s_waitcnt lgkmcnt(0)
	v_sub_f32_e32 v101, v93, v10
	v_sub_f32_e32 v102, v94, v11
	v_sub_f32_e32 v103, v95, v91
	v_sub_f32_e32 v104, v96, v104
	v_fma_f32 v105, v93, 2.0, -v101
	v_fma_f32 v106, v94, 2.0, -v102
	v_fma_f32 v107, v95, 2.0, -v103
	v_fma_f32 v108, v96, 2.0, -v104
	ds_read2st64_b64 v[93:96], v0 offset0:8 offset1:10
	s_waitcnt lgkmcnt(0)
	;; [unrolled: 10-line block ×6, first 2 shown]
	s_barrier
	buffer_gl0_inv
	ds_write2_b64 v0, v[97:98], v[3:4] offset1:240
	v_cndmask_b32_e64 v3, 0, 0x1e0, vcc_lo
	v_add_lshl_u32 v3, v3, v5, 3
	buffer_store_dword v3, off, s[20:23], 0 offset:736 ; 4-byte Folded Spill
	ds_write2_b64 v3, v[99:100], v[89:90] offset1:240
	v_add_nc_u32_e32 v3, 0xf80, v0
	v_sub_f32_e32 v145, v93, v145
	v_sub_f32_e32 v146, v94, v146
	ds_write2_b64 v3, v[105:106], v[101:102] offset1:240
	v_mad_u16 v3, 0x1e0, v6, v7
	v_sub_f32_e32 v147, v95, v147
	v_fma_f32 v93, v93, 2.0, -v145
	v_fma_f32 v94, v94, 2.0, -v146
	v_sub_f32_e32 v148, v96, v148
	v_lshlrev_b32_sdwa v3, v43, v3 dst_sel:DWORD dst_unused:UNUSED_PAD src0_sel:DWORD src1_sel:WORD_0
	v_fma_f32 v95, v95, 2.0, -v147
	v_lshrrev_b32_e32 v7, 19, v92
	v_fma_f32 v96, v96, 2.0, -v148
	buffer_store_dword v3, off, s[20:23], 0 offset:732 ; 4-byte Folded Spill
	ds_write2_b64 v3, v[107:108], v[103:104] offset1:240
	v_add_nc_u32_e32 v3, 0x1e00, v57
	buffer_store_dword v3, off, s[20:23], 0 offset:728 ; 4-byte Folded Spill
	ds_write2_b64 v3, v[113:114], v[109:110] offset1:240
	v_mad_u16 v3, 0x1e0, v12, v54
	v_lshlrev_b32_sdwa v3, v43, v3 dst_sel:DWORD dst_unused:UNUSED_PAD src0_sel:DWORD src1_sel:WORD_0
	buffer_store_dword v3, off, s[20:23], 0 offset:724 ; 4-byte Folded Spill
	ds_write2_b64 v3, v[115:116], v[111:112] offset1:240
	v_add_nc_u32_e32 v3, 0x2d00, v58
	buffer_store_dword v3, off, s[20:23], 0 offset:720 ; 4-byte Folded Spill
	ds_write2_b64 v3, v[121:122], v[117:118] offset1:240
	v_mad_u16 v3, 0x1e0, v55, v56
	v_lshlrev_b32_sdwa v3, v43, v3 dst_sel:DWORD dst_unused:UNUSED_PAD src0_sel:DWORD src1_sel:WORD_0
	;; [unrolled: 7-line block ×5, first 2 shown]
	buffer_store_dword v3, off, s[20:23], 0 offset:692 ; 4-byte Folded Spill
	ds_write2_b64 v3, v[95:96], v[147:148] offset1:240
	v_add_nc_u32_e32 v3, 0x6900, v164
	ds_write2_b64 v3, v[1:2], v[149:150] offset1:240
	v_mul_lo_u16 v1, 0x1e0, v7
	buffer_store_dword v3, off, s[20:23], 0 offset:688 ; 4-byte Folded Spill
	s_waitcnt lgkmcnt(0)
	s_waitcnt_vscnt null, 0x0
	s_barrier
	buffer_gl0_inv
	v_sub_nc_u16 v8, v49, v1
	v_lshlrev_b32_sdwa v1, v43, v8 dst_sel:DWORD dst_unused:UNUSED_PAD src0_sel:DWORD src1_sel:WORD_0
	v_add_co_u32 v1, s8, s10, v1
	v_add_co_ci_u32_e64 v2, null, s11, 0, s8
	v_add_co_u32 v52, s8, s10, v0
	v_add_co_u32 v1, vcc_lo, 0x800, v1
	v_add_co_ci_u32_e64 v53, null, s11, 0, s8
	v_add_co_ci_u32_e32 v2, vcc_lo, 0, v2, vcc_lo
	v_add_co_u32 v3, vcc_lo, 0x1000, v52
	v_add_co_ci_u32_e32 v4, vcc_lo, 0, v53, vcc_lo
	v_add_co_u32 v5, vcc_lo, 0x800, v52
	v_add_co_ci_u32_e32 v6, vcc_lo, 0, v53, vcc_lo
	s_clause 0x5
	global_load_dwordx2 v[198:199], v[1:2], off offset:1712
	global_load_dwordx2 v[187:188], v[3:4], off offset:688
	;; [unrolled: 1-line block ×6, first 2 shown]
	ds_read2st64_b64 v[1:4], v0 offset0:32 offset1:34
	v_cmp_gt_u64_e32 vcc_lo, 0x1e0, v[50:51]
	s_waitcnt vmcnt(4) lgkmcnt(0)
	v_mul_f32_e32 v9, v2, v188
	v_mul_f32_e32 v10, v1, v188
	s_waitcnt vmcnt(3)
	v_mul_f32_e32 v12, v3, v190
	v_fma_f32 v9, v1, v187, -v9
	v_mul_f32_e32 v1, v4, v190
	v_fmac_f32_e32 v10, v2, v187
	v_fmac_f32_e32 v12, v4, v189
	v_fma_f32 v11, v3, v189, -v1
	v_add_co_u32 v1, s8, 0xffffffa0, v230
	v_add_co_ci_u32_e64 v2, null, 0, -1, s8
	v_cndmask_b32_e32 v89, v1, v50, vcc_lo
	v_cndmask_b32_e64 v90, v2, 0, vcc_lo
	v_lshlrev_b64 v[1:2], 3, v[89:90]
	v_add_co_u32 v1, vcc_lo, s10, v1
	v_add_co_ci_u32_e32 v2, vcc_lo, s11, v2, vcc_lo
	v_add_co_u32 v1, vcc_lo, 0x800, v1
	v_add_co_ci_u32_e32 v2, vcc_lo, 0, v2, vcc_lo
	s_clause 0x1
	global_load_dwordx2 v[185:186], v[1:2], off offset:1712
	global_load_dwordx2 v[183:184], v[5:6], off offset:1712
	ds_read2st64_b64 v[1:4], v0 offset0:36 offset1:38
	s_waitcnt vmcnt(2) lgkmcnt(0)
	v_mul_f32_e32 v57, v3, v192
	v_fmac_f32_e32 v57, v4, v191
	s_waitcnt vmcnt(1)
	v_mul_f32_e32 v5, v2, v186
	v_mul_f32_e32 v55, v1, v186
	v_fma_f32 v54, v1, v185, -v5
	v_mul_f32_e32 v1, v4, v192
	v_fmac_f32_e32 v55, v2, v185
	v_fma_f32 v56, v3, v191, -v1
	ds_read2st64_b64 v[1:4], v0 offset0:40 offset1:42
	s_waitcnt lgkmcnt(0)
	v_mul_f32_e32 v97, v1, v194
	v_mul_f32_e32 v5, v2, v194
	;; [unrolled: 1-line block ×3, first 2 shown]
	v_fmac_f32_e32 v97, v2, v193
	v_lshrrev_b32_e32 v2, 20, v46
	v_fma_f32 v58, v1, v193, -v5
	v_mul_f32_e32 v1, v4, v196
	v_fmac_f32_e32 v103, v4, v195
	v_mul_lo_u16 v2, 0x1e0, v2
	v_fma_f32 v102, v3, v195, -v1
	v_lshrrev_b32_e32 v1, 20, v45
	v_sub_nc_u16 v3, v85, v2
	v_lshrrev_b32_e32 v2, 20, v47
	v_mul_lo_u16 v1, 0x1e0, v1
	v_lshlrev_b32_sdwa v133, v43, v3 dst_sel:DWORD dst_unused:UNUSED_PAD src0_sel:DWORD src1_sel:WORD_0
	v_mul_lo_u16 v2, 0x1e0, v2
	v_sub_nc_u16 v1, v86, v1
	v_sub_nc_u16 v5, v87, v2
	v_mul_lo_u16 v2, 0x1e0, v48
	v_lshlrev_b32_sdwa v134, v43, v1 dst_sel:DWORD dst_unused:UNUSED_PAD src0_sel:DWORD src1_sel:WORD_0
	v_lshlrev_b32_sdwa v132, v43, v5 dst_sel:DWORD dst_unused:UNUSED_PAD src0_sel:DWORD src1_sel:WORD_0
	v_sub_nc_u16 v88, v88, v2
	v_add_co_u32 v1, s8, s10, v134
	v_add_co_ci_u32_e64 v2, null, s11, 0, s8
	v_add_co_u32 v3, s8, s10, v133
	v_lshlrev_b32_sdwa v45, v43, v88 dst_sel:DWORD dst_unused:UNUSED_PAD src0_sel:DWORD src1_sel:WORD_0
	v_add_co_u32 v1, vcc_lo, 0x800, v1
	v_add_co_ci_u32_e64 v4, null, s11, 0, s8
	v_add_co_u32 v5, s8, s10, v132
	v_add_co_ci_u32_e32 v2, vcc_lo, 0, v2, vcc_lo
	v_add_co_u32 v3, vcc_lo, 0x800, v3
	v_add_co_ci_u32_e64 v6, null, s11, 0, s8
	v_add_co_u32 v45, s8, s10, v45
	v_add_co_ci_u32_e32 v4, vcc_lo, 0, v4, vcc_lo
	v_add_co_u32 v5, vcc_lo, 0x800, v5
	v_add_co_ci_u32_e64 v46, null, s11, 0, s8
	v_add_co_ci_u32_e32 v6, vcc_lo, 0, v6, vcc_lo
	v_add_co_u32 v45, vcc_lo, 0x800, v45
	v_add_co_ci_u32_e32 v46, vcc_lo, 0, v46, vcc_lo
	s_clause 0x3
	global_load_dwordx2 v[171:172], v[1:2], off offset:1712
	global_load_dwordx2 v[223:224], v[3:4], off offset:1712
	;; [unrolled: 1-line block ×4, first 2 shown]
	ds_read2st64_b64 v[1:4], v0 offset0:44 offset1:46
	s_waitcnt lgkmcnt(0)
	v_mul_f32_e32 v5, v2, v199
	v_mul_f32_e32 v105, v1, v199
	v_fma_f32 v104, v1, v198, -v5
	v_fmac_f32_e32 v105, v2, v198
	s_waitcnt vmcnt(3)
	v_mul_f32_e32 v1, v4, v172
	v_mul_f32_e32 v111, v3, v172
	v_fma_f32 v110, v3, v171, -v1
	v_fmac_f32_e32 v111, v4, v171
	ds_read2st64_b64 v[1:4], v0 offset0:48 offset1:50
	s_waitcnt vmcnt(2) lgkmcnt(0)
	v_mul_f32_e32 v5, v2, v224
	v_mul_f32_e32 v113, v1, v224
	s_waitcnt vmcnt(1)
	v_mul_f32_e32 v119, v3, v180
	v_fma_f32 v112, v1, v223, -v5
	v_mul_f32_e32 v1, v4, v180
	v_fmac_f32_e32 v113, v2, v223
	v_lshrrev_b32_e32 v2, 20, v42
	v_fmac_f32_e32 v119, v4, v179
	v_fma_f32 v118, v3, v179, -v1
	v_lshrrev_b32_e32 v1, 20, v41
	v_mul_lo_u16 v2, 0x1e0, v2
	v_mul_lo_u16 v1, 0x1e0, v1
	v_sub_nc_u16 v3, v83, v2
	v_lshrrev_b32_e32 v2, 20, v44
	v_sub_nc_u16 v1, v82, v1
	v_lshlrev_b32_sdwa v136, v43, v3 dst_sel:DWORD dst_unused:UNUSED_PAD src0_sel:DWORD src1_sel:WORD_0
	v_mul_lo_u16 v2, 0x1e0, v2
	v_lshlrev_b32_sdwa v137, v43, v1 dst_sel:DWORD dst_unused:UNUSED_PAD src0_sel:DWORD src1_sel:WORD_0
	v_sub_nc_u16 v5, v84, v2
	v_add_co_u32 v1, s8, s10, v137
	v_lshlrev_b32_sdwa v135, v43, v5 dst_sel:DWORD dst_unused:UNUSED_PAD src0_sel:DWORD src1_sel:WORD_0
	v_add_co_ci_u32_e64 v2, null, s11, 0, s8
	v_add_co_u32 v3, s8, s10, v136
	v_add_co_u32 v1, vcc_lo, 0x800, v1
	v_add_co_ci_u32_e64 v4, null, s11, 0, s8
	v_add_co_u32 v5, s8, s10, v135
	v_add_co_ci_u32_e32 v2, vcc_lo, 0, v2, vcc_lo
	v_add_co_u32 v3, vcc_lo, 0x800, v3
	v_add_co_ci_u32_e64 v6, null, s11, 0, s8
	v_add_co_ci_u32_e32 v4, vcc_lo, 0, v4, vcc_lo
	v_add_co_u32 v5, vcc_lo, 0x800, v5
	v_add_co_ci_u32_e32 v6, vcc_lo, 0, v6, vcc_lo
	s_clause 0x2
	global_load_dwordx2 v[169:170], v[1:2], off offset:1712
	global_load_dwordx2 v[175:176], v[3:4], off offset:1712
	;; [unrolled: 1-line block ×3, first 2 shown]
	ds_read2st64_b64 v[1:4], v0 offset0:52 offset1:54
	ds_read2st64_b64 v[44:47], v0 offset1:2
	v_cmp_lt_u64_e32 vcc_lo, 0x1df, v[50:51]
	v_mov_b32_e32 v50, v51
	s_waitcnt vmcnt(3) lgkmcnt(1)
	v_mul_f32_e32 v5, v2, v182
	v_mul_f32_e32 v121, v1, v182
	v_fma_f32 v120, v1, v181, -v5
	v_fmac_f32_e32 v121, v2, v181
	s_waitcnt vmcnt(2)
	v_mul_f32_e32 v1, v4, v170
	v_mul_f32_e32 v127, v3, v170
	v_fma_f32 v126, v3, v169, -v1
	v_fmac_f32_e32 v127, v4, v169
	ds_read2st64_b64 v[1:4], v0 offset0:56 offset1:58
	s_waitcnt vmcnt(1) lgkmcnt(0)
	v_mul_f32_e32 v5, v2, v176
	v_mul_f32_e32 v129, v1, v176
	s_waitcnt vmcnt(0)
	v_mul_f32_e32 v131, v3, v178
	v_fma_f32 v128, v1, v175, -v5
	v_mul_f32_e32 v1, v4, v178
	v_fmac_f32_e32 v129, v2, v175
	v_fmac_f32_e32 v131, v4, v177
	v_fma_f32 v130, v3, v177, -v1
	ds_read2st64_b64 v[1:4], v0 offset0:28 offset1:30
	s_waitcnt lgkmcnt(0)
	v_mul_f32_e32 v5, v4, v184
	v_mul_f32_e32 v6, v3, v184
	v_sub_f32_e32 v130, v1, v130
	v_sub_f32_e32 v131, v2, v131
	v_fma_f32 v5, v3, v183, -v5
	v_fmac_f32_e32 v6, v4, v183
	v_fma_f32 v1, v1, 2.0, -v130
	v_fma_f32 v2, v2, 2.0, -v131
	v_sub_f32_e32 v3, v44, v5
	v_sub_f32_e32 v4, v45, v6
	;; [unrolled: 1-line block ×4, first 2 shown]
	v_add_nc_u32_e32 v9, 0x800, v0
	v_fma_f32 v41, v44, 2.0, -v3
	v_fma_f32 v42, v45, 2.0, -v4
	v_fma_f32 v82, v46, 2.0, -v5
	v_fma_f32 v83, v47, 2.0, -v6
	ds_read2st64_b64 v[44:47], v0 offset0:4 offset1:6
	s_waitcnt lgkmcnt(0)
	v_sub_f32_e32 v84, v44, v11
	v_sub_f32_e32 v85, v45, v12
	v_sub_f32_e32 v86, v46, v54
	v_sub_f32_e32 v87, v47, v55
	v_fma_f32 v90, v44, 2.0, -v84
	v_fma_f32 v91, v45, 2.0, -v85
	v_fma_f32 v92, v46, 2.0, -v86
	v_fma_f32 v93, v47, 2.0, -v87
	ds_read2st64_b64 v[44:47], v0 offset0:8 offset1:10
	s_waitcnt lgkmcnt(0)
	v_sub_f32_e32 v94, v44, v56
	v_sub_f32_e32 v95, v45, v57
	v_sub_f32_e32 v96, v46, v58
	v_sub_f32_e32 v97, v47, v97
	;; [unrolled: 10-line block ×5, first 2 shown]
	v_fma_f32 v122, v44, 2.0, -v118
	v_fma_f32 v123, v45, 2.0, -v119
	;; [unrolled: 1-line block ×4, first 2 shown]
	ds_read2st64_b64 v[44:47], v0 offset0:24 offset1:26
	s_waitcnt lgkmcnt(0)
	s_barrier
	buffer_gl0_inv
	ds_write2_b64 v9, v[90:91], v[3:4] offset1:224
	v_add_nc_u32_e32 v3, 0x100, v0
	ds_write2st64_b64 v0, v[41:42], v[82:83] offset1:2
	ds_write2st64_b64 v3, v[5:6], v[84:85] offset0:9 offset1:11
	v_mov_b32_e32 v4, v3
	v_cndmask_b32_e64 v3, 0, 0x3c0, vcc_lo
	v_add_lshl_u32 v3, v3, v89, 3
	v_sub_f32_e32 v126, v44, v126
	v_sub_f32_e32 v127, v45, v127
	buffer_store_dword v3, off, s[20:23], 0 offset:772 ; 4-byte Folded Spill
	ds_write_b64 v3, v[92:93]
	ds_write_b64 v3, v[86:87] offset:3840
	ds_write2st64_b64 v4, v[98:99], v[100:101] offset0:15 offset1:17
	v_add_nc_u32_e32 v3, 0x2700, v0
	ds_write2_b64 v3, v[106:107], v[94:95] offset1:224
	ds_write2st64_b64 v0, v[96:97], v[102:103] offset0:25 offset1:27
	v_mad_u16 v3, 0x3c0, v7, v8
	v_sub_f32_e32 v128, v46, v128
	v_sub_f32_e32 v129, v47, v129
	v_fma_f32 v44, v44, 2.0, -v126
	v_fma_f32 v45, v45, 2.0, -v127
	v_lshlrev_b32_sdwa v3, v43, v3 dst_sel:DWORD dst_unused:UNUSED_PAD src0_sel:DWORD src1_sel:WORD_0
	v_fma_f32 v46, v46, 2.0, -v128
	v_fma_f32 v47, v47, 2.0, -v129
	buffer_store_dword v3, off, s[20:23], 0 offset:752 ; 4-byte Folded Spill
	ds_write_b64 v3, v[108:109]
	ds_write_b64 v3, v[104:105] offset:3840
	v_mad_u16 v3, 0x3c0, v48, v88
	buffer_store_dword v134, off, s[20:23], 0 offset:748 ; 4-byte Folded Spill
	ds_write_b64 v134, v[114:115] offset:15360
	ds_write_b64 v134, v[110:111] offset:19200
	buffer_store_dword v133, off, s[20:23], 0 offset:744 ; 4-byte Folded Spill
	ds_write_b64 v133, v[116:117] offset:15360
	ds_write_b64 v133, v[112:113] offset:19200
	v_lshlrev_b32_sdwa v3, v43, v3 dst_sel:DWORD dst_unused:UNUSED_PAD src0_sel:DWORD src1_sel:WORD_0
	buffer_store_dword v132, off, s[20:23], 0 offset:740 ; 4-byte Folded Spill
	ds_write_b64 v132, v[122:123] offset:15360
	ds_write_b64 v132, v[118:119] offset:19200
	buffer_store_dword v3, off, s[20:23], 0 offset:768 ; 4-byte Folded Spill
	ds_write_b64 v3, v[124:125]
	ds_write_b64 v3, v[120:121] offset:3840
	buffer_store_dword v137, off, s[20:23], 0 offset:764 ; 4-byte Folded Spill
	ds_write_b64 v137, v[44:45] offset:23040
	ds_write_b64 v137, v[126:127] offset:26880
	buffer_store_dword v136, off, s[20:23], 0 offset:760 ; 4-byte Folded Spill
	ds_write_b64 v136, v[46:47] offset:23040
	;; [unrolled: 3-line block ×3, first 2 shown]
	ds_write_b64 v135, v[130:131] offset:26880
	v_add_co_u32 v1, vcc_lo, 0x2000, v52
	v_add_co_ci_u32_e32 v2, vcc_lo, 0, v53, vcc_lo
	v_add_co_u32 v5, vcc_lo, 0x2800, v52
	v_add_co_ci_u32_e32 v6, vcc_lo, 0, v53, vcc_lo
	v_add_co_u32 v41, vcc_lo, 0x1800, v52
	s_waitcnt lgkmcnt(0)
	s_waitcnt_vscnt null, 0x0
	s_barrier
	buffer_gl0_inv
	v_add_co_ci_u32_e32 v42, vcc_lo, 0, v53, vcc_lo
	s_clause 0x5
	global_load_dwordx2 v[137:138], v[1:2], off offset:432
	global_load_dwordx2 v[139:140], v[1:2], off offset:1456
	;; [unrolled: 1-line block ×6, first 2 shown]
	v_add_co_u32 v43, vcc_lo, 0x3000, v52
	v_add_co_ci_u32_e32 v44, vcc_lo, 0, v53, vcc_lo
	ds_read2st64_b64 v[1:4], v0 offset0:32 offset1:34
	s_clause 0x3
	global_load_dwordx2 v[129:130], v[5:6], off offset:432
	global_load_dwordx2 v[135:136], v[5:6], off offset:1456
	global_load_dwordx2 v[163:164], v[43:44], off offset:944
	global_load_dwordx2 v[151:152], v[5:6], off offset:1968
	v_cmp_gt_u64_e32 vcc_lo, 0x3c0, v[49:50]
	s_waitcnt vmcnt(9) lgkmcnt(0)
	v_mul_f32_e32 v7, v2, v138
	v_mul_f32_e32 v8, v1, v138
	s_waitcnt vmcnt(8)
	v_mul_f32_e32 v10, v3, v140
	v_fma_f32 v7, v1, v137, -v7
	v_mul_f32_e32 v1, v4, v140
	v_fmac_f32_e32 v8, v2, v137
	v_fmac_f32_e32 v10, v4, v139
	v_fma_f32 v9, v3, v139, -v1
	ds_read2st64_b64 v[1:4], v0 offset0:36 offset1:38
	s_clause 0x2
	global_load_dwordx2 v[127:128], v[43:44], off offset:432
	global_load_dwordx2 v[131:132], v[43:44], off offset:1456
	;; [unrolled: 1-line block ×3, first 2 shown]
	s_waitcnt vmcnt(6) lgkmcnt(0)
	v_mul_f32_e32 v5, v2, v130
	v_mul_f32_e32 v12, v1, v130
	s_waitcnt vmcnt(5)
	v_mul_f32_e32 v55, v3, v136
	v_fma_f32 v11, v1, v129, -v5
	v_mul_f32_e32 v1, v4, v136
	v_fmac_f32_e32 v12, v2, v129
	v_fmac_f32_e32 v55, v4, v135
	v_fma_f32 v54, v3, v135, -v1
	ds_read2st64_b64 v[1:4], v0 offset0:40 offset1:42
	s_waitcnt vmcnt(2) lgkmcnt(0)
	v_mul_f32_e32 v5, v2, v128
	v_mul_f32_e32 v57, v1, v128
	s_waitcnt vmcnt(1)
	v_mul_f32_e32 v101, v3, v132
	v_fma_f32 v56, v1, v127, -v5
	v_mul_f32_e32 v1, v4, v132
	v_fmac_f32_e32 v57, v2, v127
	v_fmac_f32_e32 v101, v4, v131
	v_fma_f32 v58, v3, v131, -v1
	v_add_co_u32 v1, s8, 0xffffffc0, v230
	v_add_co_ci_u32_e64 v2, null, 0, -1, s8
	v_cndmask_b32_e32 v5, v1, v49, vcc_lo
	v_cndmask_b32_e64 v6, v2, 0, vcc_lo
	v_lshlrev_b64 v[1:2], 3, v[5:6]
	v_add_co_u32 v1, vcc_lo, s10, v1
	v_add_co_ci_u32_e32 v2, vcc_lo, s11, v2, vcc_lo
	v_add_co_u32 v1, vcc_lo, 0x1800, v1
	v_add_co_ci_u32_e32 v2, vcc_lo, 0, v2, vcc_lo
	s_clause 0x1
	global_load_dwordx2 v[125:126], v[1:2], off offset:1456
	global_load_dwordx2 v[173:174], v[41:42], off offset:1456
	ds_read2st64_b64 v[1:4], v0 offset0:44 offset1:46
	v_cmp_lt_u64_e32 vcc_lo, 0x3bf, v[49:50]
	s_waitcnt lgkmcnt(0)
	v_mul_f32_e32 v109, v3, v148
	v_fmac_f32_e32 v109, v4, v147
	s_waitcnt vmcnt(1)
	v_mul_f32_e32 v6, v2, v126
	v_mul_f32_e32 v51, v1, v126
	v_fma_f32 v6, v1, v125, -v6
	v_mul_f32_e32 v1, v4, v148
	v_fmac_f32_e32 v51, v2, v125
	v_fma_f32 v108, v3, v147, -v1
	ds_read2st64_b64 v[1:4], v0 offset0:48 offset1:50
	s_waitcnt lgkmcnt(0)
	v_mul_f32_e32 v41, v2, v156
	v_mul_f32_e32 v111, v1, v156
	v_mul_f32_e32 v117, v3, v162
	v_fma_f32 v110, v1, v155, -v41
	v_mul_f32_e32 v1, v4, v162
	v_fmac_f32_e32 v111, v2, v155
	v_fmac_f32_e32 v117, v4, v161
	v_fma_f32 v116, v3, v161, -v1
	ds_read2st64_b64 v[1:4], v0 offset0:52 offset1:54
	s_waitcnt lgkmcnt(0)
	v_mul_f32_e32 v41, v2, v166
	v_mul_f32_e32 v119, v1, v166
	v_mul_f32_e32 v134, v3, v152
	v_fma_f32 v118, v1, v165, -v41
	v_mul_f32_e32 v1, v4, v152
	v_fmac_f32_e32 v119, v2, v165
	;; [unrolled: 10-line block ×3, first 2 shown]
	v_fmac_f32_e32 v150, v4, v153
	v_fma_f32 v149, v3, v153, -v1
	ds_read2st64_b64 v[1:4], v0 offset0:28 offset1:30
	s_waitcnt vmcnt(0) lgkmcnt(0)
	v_mul_f32_e32 v41, v4, v174
	v_mul_f32_e32 v46, v3, v174
	v_sub_f32_e32 v149, v1, v149
	v_sub_f32_e32 v150, v2, v150
	v_fma_f32 v45, v3, v173, -v41
	ds_read2st64_b64 v[41:44], v0 offset1:2
	v_fmac_f32_e32 v46, v4, v173
	v_fma_f32 v1, v1, 2.0, -v149
	v_fma_f32 v2, v2, 2.0, -v150
	s_waitcnt lgkmcnt(0)
	v_sub_f32_e32 v3, v41, v45
	v_sub_f32_e32 v4, v42, v46
	v_sub_f32_e32 v45, v43, v7
	v_sub_f32_e32 v46, v44, v8
	v_fma_f32 v47, v41, 2.0, -v3
	v_fma_f32 v48, v42, 2.0, -v4
	v_fma_f32 v82, v43, 2.0, -v45
	v_fma_f32 v83, v44, 2.0, -v46
	ds_read2st64_b64 v[41:44], v0 offset0:4 offset1:6
	s_waitcnt lgkmcnt(0)
	v_sub_f32_e32 v84, v41, v9
	v_sub_f32_e32 v85, v42, v10
	v_sub_f32_e32 v86, v43, v11
	v_sub_f32_e32 v87, v44, v12
	v_fma_f32 v88, v41, 2.0, -v84
	v_fma_f32 v89, v42, 2.0, -v85
	v_fma_f32 v90, v43, 2.0, -v86
	v_fma_f32 v91, v44, 2.0, -v87
	ds_read2st64_b64 v[41:44], v0 offset0:8 offset1:10
	;; [unrolled: 10-line block ×6, first 2 shown]
	s_waitcnt lgkmcnt(0)
	s_barrier
	buffer_gl0_inv
	ds_write2st64_b64 v0, v[45:46], v[84:85] offset0:17 offset1:19
	ds_write2st64_b64 v0, v[86:87], v[92:93] offset0:21 offset1:23
	;; [unrolled: 1-line block ×3, first 2 shown]
	ds_write2st64_b64 v0, v[47:48], v[82:83] offset1:2
	ds_write2st64_b64 v0, v[88:89], v[90:91] offset0:4 offset1:6
	ds_write2st64_b64 v0, v[96:97], v[98:99] offset0:8 offset1:10
	;; [unrolled: 1-line block ×3, first 2 shown]
	v_cndmask_b32_e64 v3, 0, 0x780, vcc_lo
	v_add_lshl_u32 v3, v3, v5, 3
	buffer_store_dword v3, off, s[20:23], 0 offset:776 ; 4-byte Folded Spill
	v_sub_f32_e32 v133, v41, v124
	v_sub_f32_e32 v134, v42, v134
	;; [unrolled: 1-line block ×4, first 2 shown]
	v_fma_f32 v41, v41, 2.0, -v133
	v_fma_f32 v42, v42, 2.0, -v134
	;; [unrolled: 1-line block ×4, first 2 shown]
	ds_write2st64_b64 v3, v[106:107], v[102:103] offset1:15
	ds_write2st64_b64 v0, v[112:113], v[114:115] offset0:31 offset1:33
	ds_write2st64_b64 v0, v[110:111], v[116:117] offset0:48 offset1:50
	;; [unrolled: 1-line block ×7, first 2 shown]
	v_add_co_u32 v1, vcc_lo, 0x4000, v52
	v_add_co_ci_u32_e32 v2, vcc_lo, 0, v53, vcc_lo
	v_add_co_u32 v3, vcc_lo, 0x3800, v52
	v_add_co_ci_u32_e32 v4, vcc_lo, 0, v53, vcc_lo
	s_waitcnt lgkmcnt(0)
	s_waitcnt_vscnt null, 0x0
	s_barrier
	buffer_gl0_inv
	s_clause 0x3
	global_load_dwordx2 v[204:205], v[1:2], off offset:944
	global_load_dwordx2 v[167:168], v[1:2], off offset:1968
	;; [unrolled: 1-line block ×4, first 2 shown]
	ds_read2st64_b64 v[1:4], v0 offset0:32 offset1:34
	s_waitcnt vmcnt(3) lgkmcnt(0)
	v_mul_f32_e32 v12, v3, v205
	s_waitcnt vmcnt(1)
	v_mul_f32_e32 v5, v2, v150
	v_mul_f32_e32 v6, v1, v150
	v_fmac_f32_e32 v12, v4, v204
	v_fma_f32 v5, v1, v149, -v5
	v_mul_f32_e32 v1, v4, v205
	v_fmac_f32_e32 v6, v2, v149
	v_fma_f32 v11, v3, v204, -v1
	v_add_co_u32 v1, vcc_lo, 0x4800, v52
	v_add_co_ci_u32_e32 v2, vcc_lo, 0, v53, vcc_lo
	s_clause 0x1
	global_load_dwordx2 v[103:104], v[1:2], off offset:944
	global_load_dwordx2 v[109:110], v[1:2], off offset:1968
	v_add_co_u32 v1, vcc_lo, 0x5000, v52
	v_add_co_ci_u32_e32 v2, vcc_lo, 0, v53, vcc_lo
	s_clause 0x1
	global_load_dwordx2 v[107:108], v[1:2], off offset:944
	global_load_dwordx2 v[111:112], v[1:2], off offset:1968
	ds_read2st64_b64 v[1:4], v0 offset0:36 offset1:38
	s_waitcnt lgkmcnt(0)
	v_mul_f32_e32 v7, v2, v168
	v_mul_f32_e32 v54, v1, v168
	v_fma_f32 v51, v1, v167, -v7
	v_fmac_f32_e32 v54, v2, v167
	s_waitcnt vmcnt(3)
	v_mul_f32_e32 v1, v4, v104
	v_mul_f32_e32 v56, v3, v104
	v_fma_f32 v55, v3, v103, -v1
	v_fmac_f32_e32 v56, v4, v103
	ds_read2st64_b64 v[1:4], v0 offset0:40 offset1:42
	s_waitcnt vmcnt(2) lgkmcnt(0)
	v_mul_f32_e32 v7, v2, v110
	v_mul_f32_e32 v58, v1, v110
	s_waitcnt vmcnt(1)
	v_mul_f32_e32 v95, v3, v108
	v_fma_f32 v57, v1, v109, -v7
	v_mul_f32_e32 v1, v4, v108
	v_fmac_f32_e32 v58, v2, v109
	v_fmac_f32_e32 v95, v4, v107
	v_fma_f32 v94, v3, v107, -v1
	v_add_co_u32 v1, vcc_lo, 0x5800, v52
	v_add_co_ci_u32_e32 v2, vcc_lo, 0, v53, vcc_lo
	s_clause 0x1
	global_load_dwordx2 v[115:116], v[1:2], off offset:944
	global_load_dwordx2 v[117:118], v[1:2], off offset:1968
	v_add_co_u32 v1, vcc_lo, 0x6000, v52
	v_add_co_ci_u32_e32 v2, vcc_lo, 0, v53, vcc_lo
	s_clause 0x1
	global_load_dwordx2 v[121:122], v[1:2], off offset:944
	global_load_dwordx2 v[123:124], v[1:2], off offset:1968
	ds_read2st64_b64 v[1:4], v0 offset0:44 offset1:46
	s_waitcnt vmcnt(4) lgkmcnt(0)
	v_mul_f32_e32 v7, v2, v112
	v_mul_f32_e32 v97, v1, v112
	v_fma_f32 v96, v1, v111, -v7
	v_fmac_f32_e32 v97, v2, v111
	s_waitcnt vmcnt(3)
	v_mul_f32_e32 v1, v4, v116
	v_mul_f32_e32 v106, v3, v116
	v_fma_f32 v102, v3, v115, -v1
	v_fmac_f32_e32 v106, v4, v115
	ds_read2st64_b64 v[1:4], v0 offset0:48 offset1:50
	s_waitcnt vmcnt(2) lgkmcnt(0)
	v_mul_f32_e32 v7, v2, v118
	v_mul_f32_e32 v207, v1, v118
	s_waitcnt vmcnt(1)
	v_mul_f32_e32 v213, v3, v122
	v_fma_f32 v206, v1, v117, -v7
	v_mul_f32_e32 v1, v4, v122
	v_fmac_f32_e32 v207, v2, v117
	v_fmac_f32_e32 v213, v4, v121
	v_fma_f32 v212, v3, v121, -v1
	v_add_co_u32 v1, vcc_lo, 0x6800, v52
	v_add_co_ci_u32_e32 v2, vcc_lo, 0, v53, vcc_lo
	v_add_co_u32 v3, vcc_lo, 0x7000, v52
	v_add_co_ci_u32_e32 v4, vcc_lo, 0, v53, vcc_lo
	s_clause 0x2
	global_load_dwordx2 v[113:114], v[1:2], off offset:944
	global_load_dwordx2 v[119:120], v[1:2], off offset:1968
	;; [unrolled: 1-line block ×3, first 2 shown]
	ds_read2st64_b64 v[1:4], v0 offset0:52 offset1:54
	ds_read2st64_b64 v[41:44], v0 offset1:2
	s_waitcnt vmcnt(3) lgkmcnt(1)
	v_mul_f32_e32 v7, v2, v124
	v_mul_f32_e32 v220, v1, v124
	s_waitcnt lgkmcnt(0)
	v_sub_f32_e32 v8, v44, v6
	v_fma_f32 v53, v1, v123, -v7
	v_fmac_f32_e32 v220, v2, v123
	v_fma_f32 v48, v44, 2.0, -v8
	s_waitcnt vmcnt(2)
	v_mul_f32_e32 v1, v4, v114
	v_mul_f32_e32 v227, v3, v114
	v_fma_f32 v225, v3, v113, -v1
	v_fmac_f32_e32 v227, v4, v113
	ds_read2st64_b64 v[1:4], v0 offset0:56 offset1:58
	s_waitcnt vmcnt(1) lgkmcnt(0)
	v_mul_f32_e32 v7, v2, v120
	v_mul_f32_e32 v229, v1, v120
	s_waitcnt vmcnt(0)
	v_mul_f32_e32 v231, v3, v134
	v_fma_f32 v226, v1, v119, -v7
	v_mul_f32_e32 v1, v4, v134
	v_fmac_f32_e32 v229, v2, v119
	v_fmac_f32_e32 v231, v4, v133
	v_fma_f32 v228, v3, v133, -v1
	ds_read2st64_b64 v[1:4], v0 offset0:28 offset1:30
	s_waitcnt lgkmcnt(0)
	v_mul_f32_e32 v7, v4, v146
	v_fma_f32 v7, v3, v145, -v7
	v_mul_f32_e32 v3, v3, v146
	v_sub_f32_e32 v9, v41, v7
	v_fmac_f32_e32 v3, v4, v145
	v_sub_f32_e32 v7, v43, v5
	v_fma_f32 v45, v41, 2.0, -v9
	v_sub_f32_e32 v10, v42, v3
	v_fma_f32 v47, v43, 2.0, -v7
	v_fma_f32 v46, v42, 2.0, -v10
	ds_read2st64_b64 v[41:44], v0 offset0:4 offset1:6
	s_waitcnt lgkmcnt(0)
	v_sub_f32_e32 v49, v41, v11
	v_sub_f32_e32 v50, v42, v12
	v_sub_f32_e32 v51, v43, v51
	v_sub_f32_e32 v52, v44, v54
	v_fma_f32 v82, v41, 2.0, -v49
	v_fma_f32 v83, v42, 2.0, -v50
	v_fma_f32 v84, v43, 2.0, -v51
	v_fma_f32 v85, v44, 2.0, -v52
	ds_read2st64_b64 v[41:44], v0 offset0:8 offset1:10
	s_waitcnt lgkmcnt(0)
	v_sub_f32_e32 v86, v41, v55
	v_sub_f32_e32 v87, v42, v56
	v_sub_f32_e32 v88, v43, v57
	v_sub_f32_e32 v89, v44, v58
	v_fma_f32 v90, v41, 2.0, -v86
	v_fma_f32 v91, v42, 2.0, -v87
	;; [unrolled: 10-line block ×6, first 2 shown]
	v_fma_f32 v41, v43, 2.0, -v5
	v_fma_f32 v42, v44, 2.0, -v6
	v_sub_f32_e32 v43, v1, v228
	v_sub_f32_e32 v44, v2, v231
	v_fma_f32 v1, v1, 2.0, -v43
	v_fma_f32 v2, v2, 2.0, -v44
	ds_write2st64_b64 v0, v[7:8], v[49:50] offset0:32 offset1:34
	ds_write2st64_b64 v0, v[51:52], v[86:87] offset0:36 offset1:38
	;; [unrolled: 1-line block ×7, first 2 shown]
	ds_write2st64_b64 v0, v[45:46], v[47:48] offset1:2
	ds_write2st64_b64 v0, v[82:83], v[84:85] offset0:4 offset1:6
	ds_write2st64_b64 v0, v[90:91], v[92:93] offset0:8 offset1:10
	;; [unrolled: 1-line block ×7, first 2 shown]
	s_waitcnt lgkmcnt(0)
	s_barrier
	buffer_gl0_inv
	s_clause 0x2
	global_load_dwordx2 v[5:6], v74, s[6:7]
	global_load_dwordx2 v[7:8], v0, s[6:7]
	global_load_dwordx2 v[9:10], v0, s[6:7] offset:1024
	ds_read2st64_b64 v[1:4], v0 offset1:2
	s_waitcnt vmcnt(1) lgkmcnt(0)
	v_mul_f32_e32 v11, v2, v8
	v_mul_f32_e32 v12, v1, v8
	s_waitcnt vmcnt(0)
	v_mul_f32_e32 v8, v3, v10
	v_fma_f32 v11, v1, v7, -v11
	v_mul_f32_e32 v1, v4, v10
	v_fmac_f32_e32 v12, v2, v7
	v_fmac_f32_e32 v8, v4, v9
	v_fma_f32 v7, v3, v9, -v1
	global_load_dwordx2 v[9:10], v197, s[6:7]
	ds_read2st64_b64 v[1:4], v0 offset0:12 offset1:14
	s_waitcnt vmcnt(0) lgkmcnt(0)
	v_mul_f32_e32 v41, v2, v10
	v_mul_f32_e32 v42, v1, v10
	v_fma_f32 v41, v1, v9, -v41
	v_fmac_f32_e32 v42, v2, v9
	s_clause 0x2
	global_load_dwordx2 v[1:2], v59, s[6:7]
	global_load_dwordx2 v[9:10], v75, s[6:7]
	;; [unrolled: 1-line block ×3, first 2 shown]
	s_waitcnt vmcnt(2)
	v_mul_f32_e32 v45, v4, v2
	v_mul_f32_e32 v46, v3, v2
	v_fma_f32 v45, v3, v1, -v45
	v_fmac_f32_e32 v46, v4, v1
	buffer_load_dword v1, off, s[20:23], 0 offset:252 ; 4-byte Folded Reload
	s_waitcnt vmcnt(0)
	s_clause 0x2
	global_load_dwordx2 v[47:48], v1, s[6:7]
	global_load_dwordx2 v[49:50], v71, s[6:7]
	global_load_dwordx2 v[51:52], v70, s[6:7]
	ds_read2st64_b64 v[1:4], v0 offset0:24 offset1:26
	global_load_dwordx2 v[55:56], v214, s[6:7]
	s_waitcnt vmcnt(3) lgkmcnt(0)
	v_mul_f32_e32 v53, v2, v48
	v_mul_f32_e32 v54, v1, v48
	v_fma_f32 v53, v1, v47, -v53
	buffer_load_dword v1, off, s[20:23], 0 offset:248 ; 4-byte Folded Reload
	v_fmac_f32_e32 v54, v2, v47
	s_waitcnt vmcnt(0)
	global_load_dwordx2 v[1:2], v1, s[6:7]
	s_waitcnt vmcnt(0)
	v_mul_f32_e32 v47, v4, v2
	v_mul_f32_e32 v48, v3, v2
	v_fma_f32 v47, v3, v1, -v47
	v_fmac_f32_e32 v48, v4, v1
	ds_read2st64_b64 v[1:4], v0 offset0:36 offset1:38
	s_waitcnt lgkmcnt(0)
	v_mul_f32_e32 v57, v2, v56
	v_mul_f32_e32 v58, v1, v56
	v_fma_f32 v57, v1, v55, -v57
	v_fmac_f32_e32 v58, v2, v55
	s_clause 0x2
	global_load_dwordx2 v[1:2], v219, s[6:7]
	global_load_dwordx2 v[55:56], v76, s[6:7]
	;; [unrolled: 1-line block ×3, first 2 shown]
	s_waitcnt vmcnt(2)
	v_mul_f32_e32 v59, v4, v2
	v_mul_f32_e32 v74, v3, v2
	v_fma_f32 v73, v3, v1, -v59
	s_clause 0x2
	global_load_dwordx2 v[59:60], v60, s[6:7]
	global_load_dwordx2 v[71:72], v72, s[6:7]
	;; [unrolled: 1-line block ×3, first 2 shown]
	v_fmac_f32_e32 v74, v4, v1
	ds_read2st64_b64 v[1:4], v0 offset0:48 offset1:50
	s_waitcnt vmcnt(2) lgkmcnt(0)
	v_mul_f32_e32 v68, v2, v60
	v_mul_f32_e32 v83, v1, v60
	v_fma_f32 v82, v1, v59, -v68
	v_fmac_f32_e32 v83, v2, v59
	global_load_dwordx2 v[1:2], v61, s[6:7]
	s_waitcnt vmcnt(0)
	v_mul_f32_e32 v59, v4, v2
	v_mul_f32_e32 v60, v3, v2
	v_fma_f32 v59, v3, v1, -v59
	v_fmac_f32_e32 v60, v4, v1
	ds_read2st64_b64 v[1:4], v0 offset0:4 offset1:6
	s_waitcnt lgkmcnt(0)
	v_mul_f32_e32 v61, v4, v6
	v_mul_f32_e32 v85, v3, v6
	v_fma_f32 v84, v3, v5, -v61
	v_fmac_f32_e32 v85, v4, v5
	s_clause 0x3
	global_load_dwordx2 v[3:4], v63, s[6:7]
	global_load_dwordx2 v[5:6], v64, s[6:7]
	;; [unrolled: 1-line block ×4, first 2 shown]
	s_waitcnt vmcnt(3)
	v_mul_f32_e32 v61, v2, v4
	v_mul_f32_e32 v87, v1, v4
	v_fma_f32 v86, v1, v3, -v61
	global_load_dwordx2 v[61:62], v62, s[6:7]
	v_fmac_f32_e32 v87, v2, v3
	ds_read2st64_b64 v[1:4], v0 offset0:8 offset1:10
	s_waitcnt vmcnt(0) lgkmcnt(0)
	v_mul_f32_e32 v68, v2, v62
	v_mul_f32_e32 v89, v1, v62
	v_mul_f32_e32 v62, v3, v6
	v_fma_f32 v88, v1, v61, -v68
	v_mul_f32_e32 v1, v4, v6
	v_fmac_f32_e32 v89, v2, v61
	v_fmac_f32_e32 v62, v4, v5
	v_fma_f32 v61, v3, v5, -v1
	ds_read2st64_b64 v[1:4], v0 offset0:16 offset1:18
	s_waitcnt lgkmcnt(0)
	v_mul_f32_e32 v5, v4, v52
	v_mul_f32_e32 v6, v3, v52
	v_mul_f32_e32 v52, v1, v64
	v_fma_f32 v5, v3, v51, -v5
	v_mul_f32_e32 v3, v2, v64
	v_fmac_f32_e32 v6, v4, v51
	v_fmac_f32_e32 v52, v2, v63
	v_fma_f32 v51, v1, v63, -v3
	ds_read2st64_b64 v[1:4], v0 offset0:20 offset1:22
	s_waitcnt lgkmcnt(0)
	;; [unrolled: 10-line block ×3, first 2 shown]
	v_mul_f32_e32 v66, v4, v50
	v_mul_f32_e32 v67, v3, v50
	v_fma_f32 v66, v3, v49, -v66
	v_fmac_f32_e32 v67, v4, v49
	s_clause 0x3
	global_load_dwordx2 v[3:4], v65, s[6:7]
	global_load_dwordx2 v[49:50], v77, s[6:7]
	;; [unrolled: 1-line block ×4, first 2 shown]
	s_waitcnt vmcnt(3)
	v_mul_f32_e32 v65, v2, v4
	v_mul_f32_e32 v93, v1, v4
	v_fma_f32 v92, v1, v3, -v65
	v_fmac_f32_e32 v93, v2, v3
	ds_read2st64_b64 v[1:4], v0 offset0:32 offset1:34
	s_waitcnt lgkmcnt(0)
	v_mul_f32_e32 v65, v2, v10
	v_mul_f32_e32 v95, v1, v10
	s_waitcnt vmcnt(2)
	v_mul_f32_e32 v10, v3, v50
	v_fma_f32 v94, v1, v9, -v65
	v_mul_f32_e32 v1, v4, v50
	v_fmac_f32_e32 v95, v2, v9
	v_fmac_f32_e32 v10, v4, v49
	v_fma_f32 v9, v3, v49, -v1
	ds_read2st64_b64 v[1:4], v0 offset0:40 offset1:42
	s_waitcnt lgkmcnt(0)
	v_mul_f32_e32 v49, v4, v76
	v_mul_f32_e32 v50, v3, v76
	s_waitcnt vmcnt(1)
	v_mul_f32_e32 v76, v1, v91
	v_fma_f32 v49, v3, v75, -v49
	v_mul_f32_e32 v3, v2, v91
	v_fmac_f32_e32 v50, v4, v75
	v_fmac_f32_e32 v76, v2, v90
	v_fma_f32 v75, v1, v90, -v3
	ds_read2st64_b64 v[1:4], v0 offset0:44 offset1:46
	s_waitcnt lgkmcnt(0)
	v_mul_f32_e32 v65, v2, v70
	v_mul_f32_e32 v91, v1, v70
	v_fma_f32 v90, v1, v69, -v65
	v_fmac_f32_e32 v91, v2, v69
	s_waitcnt vmcnt(0)
	v_mul_f32_e32 v1, v4, v80
	v_mul_f32_e32 v69, v3, v80
	v_fma_f32 v68, v3, v79, -v1
	v_fmac_f32_e32 v69, v4, v79
	ds_read2st64_b64 v[1:4], v0 offset0:52 offset1:54
	s_waitcnt lgkmcnt(0)
	v_mul_f32_e32 v65, v4, v72
	v_mul_f32_e32 v80, v3, v72
	v_fma_f32 v79, v3, v71, -v65
	v_fmac_f32_e32 v80, v4, v71
	s_clause 0x1
	global_load_dwordx2 v[3:4], v78, s[6:7]
	global_load_dwordx2 v[70:71], v81, s[6:7]
	s_mov_b32 s6, 0x11111111
	s_mov_b32 s7, 0x3f311111
	s_waitcnt vmcnt(1)
	v_mul_f32_e32 v65, v2, v4
	v_mul_f32_e32 v78, v1, v4
	v_fma_f32 v77, v1, v3, -v65
	v_fmac_f32_e32 v78, v2, v3
	ds_read2st64_b64 v[1:4], v0 offset0:56 offset1:58
	s_waitcnt lgkmcnt(0)
	v_mul_f32_e32 v65, v2, v56
	v_mul_f32_e32 v97, v1, v56
	v_fma_f32 v96, v1, v55, -v65
	v_fmac_f32_e32 v97, v2, v55
	s_waitcnt vmcnt(0)
	v_mul_f32_e32 v1, v4, v71
	v_mul_f32_e32 v2, v3, v71
	v_fma_f32 v1, v3, v70, -v1
	v_fmac_f32_e32 v2, v4, v70
	ds_write2st64_b64 v0, v[11:12], v[7:8] offset1:2
	ds_write2st64_b64 v0, v[41:42], v[45:46] offset0:12 offset1:14
	ds_write2st64_b64 v0, v[53:54], v[47:48] offset0:24 offset1:26
	;; [unrolled: 1-line block ×14, first 2 shown]
	s_waitcnt lgkmcnt(0)
	s_barrier
	buffer_gl0_inv
	ds_read2st64_b64 v[61:64], v0 offset0:12 offset1:14
	ds_read2st64_b64 v[65:68], v0 offset0:24 offset1:26
	;; [unrolled: 1-line block ×9, first 2 shown]
	ds_read2st64_b64 v[97:100], v0 offset1:2
	ds_read2st64_b64 v[69:72], v0 offset0:8 offset1:10
	ds_read2st64_b64 v[89:92], v0 offset0:20 offset1:22
	;; [unrolled: 1-line block ×5, first 2 shown]
	s_waitcnt lgkmcnt(0)
	s_barrier
	buffer_gl0_inv
	buffer_load_dword v225, off, s[20:23], 0 offset:264 ; 4-byte Folded Reload
	v_sub_f32_e32 v1, v61, v65
	v_sub_f32_e32 v2, v73, v77
	;; [unrolled: 1-line block ×6, first 2 shown]
	v_add_f32_e32 v102, v1, v2
	v_sub_f32_e32 v1, v62, v66
	v_sub_f32_e32 v2, v74, v78
	v_add_f32_e32 v7, v66, v78
	v_add_f32_e32 v5, v43, v47
	v_add_f32_e32 v6, v44, v48
	v_sub_f32_e32 v8, v62, v74
	v_add_f32_e32 v106, v1, v2
	v_sub_f32_e32 v1, v47, v51
	v_sub_f32_e32 v2, v55, v59
	v_fma_f32 v211, -0.5, v7, v98
	v_sub_f32_e32 v9, v61, v73
	v_add_f32_e32 v5, v5, v51
	v_add_f32_e32 v6, v6, v52
	;; [unrolled: 1-line block ×3, first 2 shown]
	v_sub_f32_e32 v1, v48, v52
	v_sub_f32_e32 v2, v56, v60
	;; [unrolled: 1-line block ×4, first 2 shown]
	v_fmamk_f32 v213, v9, 0x3f737871, v211
	v_add_f32_e32 v5, v5, v59
	v_add_f32_e32 v1, v1, v2
	;; [unrolled: 1-line block ×4, first 2 shown]
	v_fmac_f32_e32 v213, 0x3f167918, v10
	v_add_f32_e32 v12, v5, v55
	v_fmac_f32_e32 v211, 0xbf737871, v9
	v_fma_f32 v105, -0.5, v2, v43
	v_add_f32_e32 v2, v52, v60
	v_add_f32_e32 v220, v6, v56
	v_fmac_f32_e32 v213, 0x3e9e377a, v106
	v_fmac_f32_e32 v211, 0xbf167918, v10
	v_fmamk_f32 v4, v207, 0xbf737871, v105
	v_fma_f32 v2, -0.5, v2, v44
	v_fmac_f32_e32 v105, 0x3f737871, v207
	v_fmac_f32_e32 v211, 0x3e9e377a, v106
	;; [unrolled: 1-line block ×3, first 2 shown]
	v_fmamk_f32 v3, v197, 0x3f737871, v2
	v_fmac_f32_e32 v2, 0xbf737871, v197
	v_fmac_f32_e32 v105, 0x3f167918, v214
	v_fmac_f32_e32 v4, 0x3e9e377a, v101
	v_fmac_f32_e32 v3, 0x3f167918, v219
	v_fmac_f32_e32 v2, 0xbf167918, v219
	v_fmac_f32_e32 v105, 0x3e9e377a, v101
	v_mul_f32_e32 v208, 0x3f167918, v4
	v_fmac_f32_e32 v3, 0x3e9e377a, v1
	v_fmac_f32_e32 v2, 0x3e9e377a, v1
	v_mul_f32_e32 v206, 0xbf167918, v3
	v_fmac_f32_e32 v208, 0x3f4f1bbd, v3
	v_add_f32_e32 v3, v97, v61
	v_fmac_f32_e32 v206, 0x3f4f1bbd, v4
	v_add_f32_e32 v4, v65, v77
	v_add_f32_e32 v3, v3, v65
	;; [unrolled: 1-line block ×3, first 2 shown]
	v_fma_f32 v209, -0.5, v4, v97
	v_add_f32_e32 v4, v98, v62
	v_add_f32_e32 v3, v3, v77
	v_fmamk_f32 v210, v8, 0xbf737871, v209
	v_add_f32_e32 v4, v4, v66
	v_add_f32_e32 v7, v3, v73
	v_fmac_f32_e32 v209, 0x3f737871, v8
	v_fmac_f32_e32 v210, 0xbf167918, v212
	v_add_f32_e32 v4, v4, v78
	v_add_f32_e32 v3, v7, v12
	v_fmac_f32_e32 v209, 0x3f167918, v212
	v_fmac_f32_e32 v210, 0x3e9e377a, v102
	v_add_f32_e32 v11, v4, v74
	v_fmac_f32_e32 v209, 0x3e9e377a, v102
	v_add_f32_e32 v5, v210, v206
	v_add_f32_e32 v4, v11, v220
	s_waitcnt vmcnt(0)
	ds_write_b128 v225, v[3:6]
	v_sub_f32_e32 v4, v77, v73
	buffer_load_dword v77, off, s[20:23], 0 offset:260 ; 4-byte Folded Reload
	v_sub_f32_e32 v3, v65, v61
	v_sub_f32_e32 v5, v78, v74
	;; [unrolled: 1-line block ×4, first 2 shown]
	v_add_f32_e32 v3, v3, v4
	v_sub_f32_e32 v4, v66, v62
	v_add_f32_e32 v4, v4, v5
	v_sub_f32_e32 v5, v51, v47
	v_sub_f32_e32 v51, v60, v56
	v_add_f32_e32 v5, v5, v6
	v_sub_f32_e32 v6, v52, v48
	v_add_f32_e32 v6, v6, v51
	v_add_f32_e32 v51, v61, v73
	v_fma_f32 v51, -0.5, v51, v97
	v_fmamk_f32 v52, v212, 0x3f737871, v51
	v_fmac_f32_e32 v51, 0xbf737871, v212
	v_fmac_f32_e32 v52, 0xbf167918, v8
	;; [unrolled: 1-line block ×3, first 2 shown]
	v_sub_f32_e32 v8, v67, v79
	v_fmac_f32_e32 v52, 0x3e9e377a, v3
	v_fmac_f32_e32 v51, 0x3e9e377a, v3
	v_add_f32_e32 v3, v62, v74
	v_sub_f32_e32 v62, v89, v81
	v_fma_f32 v59, -0.5, v3, v98
	v_add_f32_e32 v3, v47, v55
	v_fmamk_f32 v60, v10, 0xbf737871, v59
	v_fmac_f32_e32 v59, 0x3f737871, v10
	v_fma_f32 v3, -0.5, v3, v43
	v_sub_f32_e32 v10, v68, v64
	v_fmac_f32_e32 v60, 0x3f167918, v9
	v_fmac_f32_e32 v59, 0xbf167918, v9
	v_sub_f32_e32 v9, v64, v68
	v_fmac_f32_e32 v60, 0x3e9e377a, v4
	v_fmac_f32_e32 v59, 0x3e9e377a, v4
	v_fmamk_f32 v4, v214, 0x3f737871, v3
	v_fmac_f32_e32 v3, 0xbf737871, v214
	v_fmac_f32_e32 v4, 0xbf167918, v207
	;; [unrolled: 1-line block ×5, first 2 shown]
	v_add_f32_e32 v5, v48, v56
	v_fma_f32 v5, -0.5, v5, v44
	v_fmamk_f32 v43, v219, 0xbf737871, v5
	v_fmac_f32_e32 v5, 0x3f737871, v219
	v_fmac_f32_e32 v43, 0x3f167918, v197
	;; [unrolled: 1-line block ×5, first 2 shown]
	v_mul_f32_e32 v44, 0xbf737871, v43
	v_mul_f32_e32 v43, 0x3e9e377a, v43
	;; [unrolled: 1-line block ×4, first 2 shown]
	v_fmac_f32_e32 v44, 0x3e9e377a, v4
	v_fmac_f32_e32 v43, 0x3f737871, v4
	;; [unrolled: 1-line block ×4, first 2 shown]
	v_add_f32_e32 v3, v52, v44
	v_add_f32_e32 v4, v60, v43
	;; [unrolled: 1-line block ×4, first 2 shown]
	ds_write_b128 v225, v[3:6] offset:16
	v_mul_f32_e32 v5, 0xbf167918, v2
	v_mul_f32_e32 v6, 0xbf4f1bbd, v2
	v_sub_f32_e32 v3, v7, v12
	v_sub_f32_e32 v4, v11, v220
	;; [unrolled: 1-line block ×3, first 2 shown]
	v_fmac_f32_e32 v5, 0xbf4f1bbd, v105
	v_fmac_f32_e32 v6, 0x3f167918, v105
	v_add_f32_e32 v12, v63, v75
	v_add_f32_e32 v7, v68, v80
	;; [unrolled: 1-line block ×4, first 2 shown]
	v_fma_f32 v7, -0.5, v7, v100
	ds_write_b128 v225, v[1:4] offset:32
	v_sub_f32_e32 v1, v210, v206
	v_sub_f32_e32 v3, v52, v44
	;; [unrolled: 1-line block ×4, first 2 shown]
	v_add_f32_e32 v44, v64, v76
	v_sub_f32_e32 v43, v63, v75
	v_sub_f32_e32 v52, v80, v76
	ds_write_b128 v225, v[1:4] offset:48
	v_sub_f32_e32 v1, v51, v47
	v_sub_f32_e32 v3, v209, v5
	;; [unrolled: 1-line block ×8, first 2 shown]
	ds_write_b128 v225, v[1:4] offset:64
	v_add_f32_e32 v1, v99, v63
	v_add_f32_e32 v2, v100, v64
	;; [unrolled: 1-line block ×3, first 2 shown]
	v_sub_f32_e32 v64, v90, v82
	v_sub_f32_e32 v4, v63, v67
	v_add_f32_e32 v1, v1, v67
	v_add_f32_e32 v2, v2, v68
	v_sub_f32_e32 v63, v93, v85
	v_add_f32_e32 v3, v67, v79
	v_fmamk_f32 v74, v43, 0x3f737871, v7
	v_add_f32_e32 v1, v1, v79
	v_add_f32_e32 v2, v2, v80
	;; [unrolled: 1-line block ×3, first 2 shown]
	v_fma_f32 v68, -0.5, v3, v99
	v_fmac_f32_e32 v74, 0x3f167918, v8
	v_add_f32_e32 v55, v1, v75
	v_add_f32_e32 v56, v2, v76
	v_sub_f32_e32 v1, v89, v93
	v_sub_f32_e32 v2, v81, v85
	v_fmamk_f32 v73, v11, 0xbf737871, v68
	v_sub_f32_e32 v48, v79, v75
	v_fmac_f32_e32 v74, 0x3e9e377a, v9
	v_fmac_f32_e32 v100, -0.5, v44
	v_add_f32_e32 v51, v1, v2
	v_sub_f32_e32 v1, v90, v94
	v_sub_f32_e32 v2, v82, v86
	v_fmac_f32_e32 v73, 0xbf167918, v5
	v_fmac_f32_e32 v68, 0x3f737871, v11
	;; [unrolled: 1-line block ×3, first 2 shown]
	v_add_f32_e32 v59, v1, v2
	v_add_f32_e32 v1, v93, v85
	v_fmac_f32_e32 v73, 0x3e9e377a, v47
	v_fmac_f32_e32 v68, 0x3f167918, v5
	;; [unrolled: 1-line block ×3, first 2 shown]
	v_fma_f32 v60, -0.5, v1, v69
	v_add_f32_e32 v1, v94, v86
	v_fmac_f32_e32 v68, 0x3e9e377a, v47
	v_fmac_f32_e32 v7, 0x3e9e377a, v9
	v_sub_f32_e32 v9, v46, v50
	v_fmamk_f32 v2, v64, 0xbf737871, v60
	v_fma_f32 v61, -0.5, v1, v70
	v_fmac_f32_e32 v60, 0x3f737871, v64
	v_sub_f32_e32 v47, v54, v58
	v_fmac_f32_e32 v2, 0xbf167918, v65
	v_fmamk_f32 v1, v62, 0x3f737871, v61
	v_fmac_f32_e32 v61, 0xbf737871, v62
	v_fmac_f32_e32 v60, 0x3f167918, v65
	v_add_f32_e32 v9, v9, v47
	v_fmac_f32_e32 v2, 0x3e9e377a, v51
	v_fmac_f32_e32 v1, 0x3f167918, v63
	v_fmac_f32_e32 v61, 0xbf167918, v63
	v_fmac_f32_e32 v60, 0x3e9e377a, v51
	v_add_f32_e32 v51, v95, v87
	v_mul_f32_e32 v67, 0x3f167918, v2
	v_fmac_f32_e32 v1, 0x3e9e377a, v59
	v_fmac_f32_e32 v61, 0x3e9e377a, v59
	v_sub_f32_e32 v59, v92, v84
	v_fma_f32 v51, -0.5, v51, v71
	v_mul_f32_e32 v66, 0xbf167918, v1
	v_fmac_f32_e32 v67, 0x3f4f1bbd, v1
	v_add_f32_e32 v1, v69, v89
	v_fmac_f32_e32 v66, 0x3f4f1bbd, v2
	v_add_f32_e32 v2, v70, v90
	v_add_f32_e32 v1, v1, v93
	;; [unrolled: 1-line block ×11, first 2 shown]
	s_waitcnt vmcnt(0)
	ds_write_b128 v77, v[1:4]
	v_sub_f32_e32 v3, v93, v89
	v_sub_f32_e32 v4, v85, v81
	v_add_f32_e32 v1, v6, v48
	v_sub_f32_e32 v6, v86, v82
	v_add_f32_e32 v2, v10, v52
	v_add_f32_e32 v3, v3, v4
	v_sub_f32_e32 v4, v94, v90
	v_add_f32_e32 v4, v4, v6
	v_fma_f32 v6, -0.5, v12, v99
	v_fmamk_f32 v12, v8, 0xbf737871, v100
	v_fmac_f32_e32 v100, 0x3f737871, v8
	v_mul_f32_e32 v8, 0xbf4f1bbd, v61
	v_fmamk_f32 v10, v5, 0x3f737871, v6
	v_fmac_f32_e32 v6, 0xbf737871, v5
	v_fmac_f32_e32 v12, 0x3f167918, v43
	;; [unrolled: 1-line block ×3, first 2 shown]
	v_mul_f32_e32 v5, 0xbf167918, v61
	v_fmac_f32_e32 v10, 0xbf167918, v11
	v_fmac_f32_e32 v6, 0x3f167918, v11
	v_fmac_f32_e32 v12, 0x3e9e377a, v2
	v_fmac_f32_e32 v100, 0x3e9e377a, v2
	v_fmac_f32_e32 v5, 0xbf4f1bbd, v60
	v_fmac_f32_e32 v10, 0x3e9e377a, v1
	v_fmac_f32_e32 v6, 0x3e9e377a, v1
	v_add_f32_e32 v1, v89, v81
	v_fmac_f32_e32 v8, 0x3f167918, v60
	v_sub_f32_e32 v61, v91, v83
	v_sub_f32_e32 v11, v46, v54
	;; [unrolled: 1-line block ×3, first 2 shown]
	v_fma_f32 v1, -0.5, v1, v69
	v_add_f32_e32 v60, v91, v83
	v_fmamk_f32 v2, v65, 0x3f737871, v1
	v_fmac_f32_e32 v1, 0xbf737871, v65
	v_sub_f32_e32 v65, v84, v88
	v_fmac_f32_e32 v2, 0xbf167918, v64
	v_fmac_f32_e32 v1, 0x3f167918, v64
	v_sub_f32_e32 v64, v87, v83
	v_fmac_f32_e32 v2, 0x3e9e377a, v3
	v_fmac_f32_e32 v1, 0x3e9e377a, v3
	v_add_f32_e32 v3, v90, v82
	v_fma_f32 v3, -0.5, v3, v70
	v_fmamk_f32 v44, v63, 0xbf737871, v3
	v_fmac_f32_e32 v3, 0x3f737871, v63
	v_sub_f32_e32 v63, v83, v87
	v_fmac_f32_e32 v44, 0x3f167918, v62
	v_fmac_f32_e32 v3, 0xbf167918, v62
	v_add_f32_e32 v62, v92, v84
	v_fmac_f32_e32 v44, 0x3e9e377a, v4
	v_fmac_f32_e32 v3, 0x3e9e377a, v4
	v_mul_f32_e32 v48, 0xbf737871, v44
	v_mul_f32_e32 v44, 0x3e9e377a, v44
	;; [unrolled: 1-line block ×4, first 2 shown]
	v_fmac_f32_e32 v48, 0x3e9e377a, v2
	v_fmac_f32_e32 v44, 0x3f737871, v2
	;; [unrolled: 1-line block ×4, first 2 shown]
	v_add_f32_e32 v1, v10, v48
	v_add_f32_e32 v2, v12, v44
	;; [unrolled: 1-line block ×4, first 2 shown]
	ds_write_b128 v77, v[1:4] offset:16
	v_sub_f32_e32 v3, v55, v75
	v_sub_f32_e32 v4, v56, v76
	v_add_f32_e32 v1, v68, v5
	v_add_f32_e32 v2, v7, v8
	;; [unrolled: 1-line block ×3, first 2 shown]
	v_sub_f32_e32 v56, v95, v87
	ds_write_b128 v77, v[1:4] offset:32
	v_sub_f32_e32 v1, v73, v66
	buffer_load_dword v73, off, s[20:23], 0 offset:256 ; 4-byte Folded Reload
	v_sub_f32_e32 v3, v10, v48
	v_sub_f32_e32 v2, v74, v67
	;; [unrolled: 1-line block ×4, first 2 shown]
	v_fma_f32 v55, -0.5, v55, v72
	v_add_f32_e32 v12, v45, v53
	v_add_f32_e32 v44, v46, v54
	ds_write_b128 v77, v[1:4] offset:48
	v_sub_f32_e32 v2, v100, v69
	v_sub_f32_e32 v1, v6, v52
	;; [unrolled: 1-line block ×6, first 2 shown]
	v_add_f32_e32 v7, v50, v58
	v_sub_f32_e32 v8, v49, v57
	ds_write_b128 v77, v[1:4] offset:64
	v_add_f32_e32 v1, v41, v45
	v_add_f32_e32 v2, v42, v46
	;; [unrolled: 1-line block ×3, first 2 shown]
	v_sub_f32_e32 v4, v45, v49
	v_sub_f32_e32 v45, v53, v57
	v_add_f32_e32 v1, v1, v49
	v_add_f32_e32 v2, v2, v50
	v_sub_f32_e32 v46, v57, v53
	v_sub_f32_e32 v52, v96, v88
	v_fma_f32 v7, -0.5, v7, v42
	v_add_f32_e32 v1, v1, v57
	v_add_f32_e32 v2, v2, v58
	v_sub_f32_e32 v57, v92, v96
	v_add_f32_e32 v45, v4, v45
	v_fmamk_f32 v70, v43, 0x3f737871, v7
	v_add_f32_e32 v49, v1, v53
	v_add_f32_e32 v50, v2, v54
	;; [unrolled: 1-line block ×4, first 2 shown]
	v_sub_f32_e32 v53, v91, v95
	v_fmac_f32_e32 v70, 0x3f167918, v8
	v_fmac_f32_e32 v72, -0.5, v62
	v_add_f32_e32 v1, v1, v95
	v_add_f32_e32 v2, v2, v96
	v_add_f32_e32 v47, v53, v63
	v_add_f32_e32 v53, v57, v65
	v_fma_f32 v65, -0.5, v3, v41
	v_add_f32_e32 v1, v1, v87
	v_add_f32_e32 v2, v2, v88
	v_fmac_f32_e32 v70, 0x3e9e377a, v9
	v_sub_f32_e32 v48, v58, v54
	v_fmamk_f32 v69, v11, 0xbf737871, v65
	v_add_f32_e32 v67, v1, v83
	v_add_f32_e32 v68, v2, v84
	v_fmamk_f32 v1, v61, 0x3f737871, v55
	v_fmamk_f32 v2, v59, 0xbf737871, v51
	v_fmac_f32_e32 v69, 0xbf167918, v5
	v_sub_f32_e32 v58, v96, v92
	v_sub_f32_e32 v66, v88, v84
	v_fmac_f32_e32 v1, 0x3f167918, v56
	v_fmac_f32_e32 v2, 0xbf167918, v52
	;; [unrolled: 1-line block ×3, first 2 shown]
	v_fmac_f32_e32 v42, -0.5, v44
	v_sub_f32_e32 v54, v95, v91
	v_fmac_f32_e32 v1, 0x3e9e377a, v53
	v_fmac_f32_e32 v2, 0x3e9e377a, v47
	;; [unrolled: 1-line block ×5, first 2 shown]
	v_mul_f32_e32 v57, 0xbf167918, v1
	v_mul_f32_e32 v63, 0x3f167918, v2
	v_fmac_f32_e32 v55, 0xbf167918, v56
	v_fmac_f32_e32 v7, 0xbf737871, v43
	;; [unrolled: 1-line block ×5, first 2 shown]
	v_add_f32_e32 v1, v49, v67
	v_add_f32_e32 v2, v50, v68
	v_fmac_f32_e32 v55, 0x3e9e377a, v53
	v_add_f32_e32 v3, v69, v57
	v_add_f32_e32 v4, v70, v63
	v_fmac_f32_e32 v65, 0x3f167918, v5
	v_fmac_f32_e32 v7, 0xbf167918, v8
	;; [unrolled: 1-line block ×5, first 2 shown]
	s_waitcnt vmcnt(0)
	ds_write_b128 v73, v[1:4]
	v_add_f32_e32 v4, v6, v46
	v_fma_f32 v6, -0.5, v12, v41
	v_fmamk_f32 v2, v56, 0xbf737871, v72
	v_fmac_f32_e32 v72, 0x3f737871, v56
	v_add_f32_e32 v1, v58, v66
	v_fma_f32 v3, -0.5, v60, v71
	v_fmamk_f32 v12, v5, 0x3f737871, v6
	v_fmac_f32_e32 v6, 0xbf737871, v5
	v_fmac_f32_e32 v72, 0xbf167918, v61
	;; [unrolled: 1-line block ×3, first 2 shown]
	v_mul_f32_e32 v5, 0xbf167918, v55
	v_fmac_f32_e32 v12, 0xbf167918, v11
	v_fmac_f32_e32 v6, 0x3f167918, v11
	;; [unrolled: 1-line block ×4, first 2 shown]
	v_fmamk_f32 v1, v52, 0x3f737871, v3
	v_fmac_f32_e32 v12, 0x3e9e377a, v4
	v_fmac_f32_e32 v6, 0x3e9e377a, v4
	v_add_f32_e32 v4, v10, v48
	v_fmamk_f32 v10, v8, 0xbf737871, v42
	v_fmac_f32_e32 v42, 0x3f737871, v8
	v_fmac_f32_e32 v3, 0xbf737871, v52
	;; [unrolled: 1-line block ×3, first 2 shown]
	v_mul_f32_e32 v58, 0xbf737871, v72
	v_fmac_f32_e32 v10, 0x3f167918, v43
	v_fmac_f32_e32 v42, 0xbf167918, v43
	;; [unrolled: 1-line block ×3, first 2 shown]
	v_mul_f32_e32 v60, 0xbe9e377a, v72
	v_mul_f32_e32 v41, 0xbf737871, v2
	v_fmac_f32_e32 v10, 0x3e9e377a, v4
	v_fmac_f32_e32 v42, 0x3e9e377a, v4
	v_add_f32_e32 v4, v54, v64
	v_mul_f32_e32 v44, 0x3e9e377a, v2
	v_mul_f32_e32 v8, 0xbf4f1bbd, v55
	v_fmac_f32_e32 v5, 0xbf4f1bbd, v51
	v_fmac_f32_e32 v1, 0x3e9e377a, v4
	;; [unrolled: 1-line block ×8, first 2 shown]
	v_add_f32_e32 v1, v12, v41
	v_add_f32_e32 v2, v10, v44
	;; [unrolled: 1-line block ×4, first 2 shown]
	ds_write_b128 v73, v[1:4] offset:16
	v_sub_f32_e32 v3, v49, v67
	v_sub_f32_e32 v4, v50, v68
	v_add_f32_e32 v1, v65, v5
	v_add_f32_e32 v2, v7, v8
	ds_write_b128 v73, v[1:4] offset:32
	v_sub_f32_e32 v1, v69, v57
	v_sub_f32_e32 v3, v12, v41
	v_sub_f32_e32 v2, v70, v63
	v_sub_f32_e32 v4, v10, v44
	ds_write_b128 v73, v[1:4] offset:48
	v_sub_f32_e32 v2, v42, v60
	v_sub_f32_e32 v1, v6, v58
	;; [unrolled: 1-line block ×4, first 2 shown]
	ds_write_b128 v73, v[1:4] offset:64
	s_waitcnt lgkmcnt(0)
	s_barrier
	buffer_gl0_inv
	ds_read2st64_b64 v[1:4], v0 offset0:52 offset1:54
	s_clause 0x1
	buffer_load_dword v5, off, s[20:23], 0 offset:276
	buffer_load_dword v6, off, s[20:23], 0 offset:280
	s_waitcnt vmcnt(0) lgkmcnt(0)
	v_mul_f32_e32 v48, v6, v2
	v_fmac_f32_e32 v48, v5, v1
	v_mul_f32_e32 v1, v6, v1
	v_fma_f32 v49, v5, v2, -v1
	s_clause 0x1
	buffer_load_dword v5, off, s[20:23], 0 offset:268
	buffer_load_dword v6, off, s[20:23], 0 offset:272
	s_waitcnt vmcnt(0)
	v_mul_f32_e32 v46, v6, v4
	v_mul_f32_e32 v1, v6, v3
	v_fmac_f32_e32 v46, v5, v3
	v_fma_f32 v47, v5, v4, -v1
	ds_read2st64_b64 v[1:4], v0 offset0:56 offset1:58
	s_clause 0x1
	buffer_load_dword v5, off, s[20:23], 0 offset:300
	buffer_load_dword v6, off, s[20:23], 0 offset:304
	s_waitcnt vmcnt(0) lgkmcnt(0)
	v_mul_f32_e32 v44, v6, v2
	v_fmac_f32_e32 v44, v5, v1
	v_mul_f32_e32 v1, v6, v1
	v_fma_f32 v45, v5, v2, -v1
	s_clause 0x1
	buffer_load_dword v5, off, s[20:23], 0 offset:292
	buffer_load_dword v6, off, s[20:23], 0 offset:296
	s_waitcnt vmcnt(0)
	v_mul_f32_e32 v41, v6, v4
	v_mul_f32_e32 v1, v6, v3
	v_fmac_f32_e32 v41, v5, v3
	v_fma_f32 v42, v5, v4, -v1
	ds_read2st64_b64 v[1:4], v0 offset0:48 offset1:50
	s_clause 0x1
	buffer_load_dword v5, off, s[20:23], 0 offset:284
	buffer_load_dword v6, off, s[20:23], 0 offset:288
	s_waitcnt lgkmcnt(0)
	v_mul_f32_e32 v43, v40, v2
	v_fmac_f32_e32 v43, v39, v1
	v_mul_f32_e32 v1, v40, v1
	v_fma_f32 v40, v39, v2, -v1
	s_waitcnt vmcnt(0)
	v_mul_f32_e32 v7, v6, v4
	v_fmac_f32_e32 v7, v5, v3
	v_mul_f32_e32 v3, v6, v3
	v_fma_f32 v8, v5, v4, -v3
	ds_read2st64_b64 v[1:4], v0 offset0:36 offset1:38
	s_waitcnt lgkmcnt(0)
	v_mul_f32_e32 v39, v38, v4
	v_fmac_f32_e32 v39, v37, v3
	v_mul_f32_e32 v3, v38, v3
	v_mul_f32_e32 v38, v34, v2
	v_fma_f32 v37, v37, v4, -v3
	v_fmac_f32_e32 v38, v33, v1
	v_mul_f32_e32 v1, v34, v1
	v_fma_f32 v33, v33, v2, -v1
	ds_read2st64_b64 v[1:4], v0 offset0:44 offset1:46
	s_waitcnt lgkmcnt(0)
	v_mul_f32_e32 v34, v36, v4
	v_fmac_f32_e32 v34, v35, v3
	v_mul_f32_e32 v3, v36, v3
	v_mul_f32_e32 v36, v28, v2
	v_fma_f32 v35, v35, v4, -v3
	;; [unrolled: 10-line block ×3, first 2 shown]
	v_fmac_f32_e32 v26, v17, v1
	v_mul_f32_e32 v1, v18, v1
	v_fma_f32 v50, v17, v2, -v1
	ds_read2st64_b64 v[1:4], v0 offset0:40 offset1:42
	s_waitcnt lgkmcnt(0)
	v_mul_f32_e32 v51, v20, v4
	v_mul_f32_e32 v18, v144, v2
	v_fmac_f32_e32 v51, v19, v3
	v_mul_f32_e32 v3, v20, v3
	v_fmac_f32_e32 v18, v143, v1
	v_mul_f32_e32 v1, v144, v1
	v_fma_f32 v52, v19, v4, -v3
	v_fma_f32 v19, v143, v2, -v1
	ds_read2st64_b64 v[2:5], v0 offset0:28 offset1:30
	s_waitcnt lgkmcnt(0)
	v_mul_f32_e32 v1, v142, v4
	v_mul_f32_e32 v20, v142, v5
	v_fma_f32 v53, v141, v5, -v1
	v_mul_f32_e32 v1, v32, v3
	v_fmac_f32_e32 v20, v141, v4
	v_fmac_f32_e32 v1, v31, v2
	v_mul_f32_e32 v2, v32, v2
	v_sub_f32_e32 v62, v20, v7
	v_fma_f32 v2, v31, v3, -v2
	ds_read2st64_b64 v[3:6], v0 offset0:16 offset1:18
	s_waitcnt lgkmcnt(0)
	v_mul_f32_e32 v9, v30, v6
	v_mul_f32_e32 v11, v22, v4
	v_fmac_f32_e32 v9, v29, v5
	v_mul_f32_e32 v5, v30, v5
	v_fmac_f32_e32 v11, v21, v3
	v_mul_f32_e32 v3, v22, v3
	v_fma_f32 v10, v29, v6, -v5
	v_fma_f32 v12, v21, v4, -v3
	ds_read2st64_b64 v[3:6], v0 offset0:24 offset1:26
	s_waitcnt lgkmcnt(0)
	v_mul_f32_e32 v17, v24, v6
	v_fmac_f32_e32 v17, v23, v5
	v_mul_f32_e32 v5, v24, v5
	v_fma_f32 v22, v23, v6, -v5
	v_mul_f32_e32 v23, v16, v4
	v_fmac_f32_e32 v23, v15, v3
	v_mul_f32_e32 v3, v16, v3
	v_fma_f32 v24, v15, v4, -v3
	ds_read2st64_b64 v[3:6], v0 offset0:12 offset1:14
	s_waitcnt lgkmcnt(0)
	v_mul_f32_e32 v29, v14, v6
	v_mul_f32_e32 v31, v216, v4
	v_fmac_f32_e32 v29, v13, v5
	v_mul_f32_e32 v5, v14, v5
	v_fmac_f32_e32 v31, v215, v3
	v_mul_f32_e32 v3, v216, v3
	v_fma_f32 v30, v13, v6, -v5
	ds_read2st64_b64 v[13:16], v0 offset1:2
	v_fma_f32 v32, v215, v4, -v3
	ds_read2st64_b64 v[3:6], v0 offset0:20 offset1:22
	s_waitcnt lgkmcnt(0)
	v_mul_f32_e32 v54, v218, v6
	v_mul_f32_e32 v21, v160, v4
	v_fmac_f32_e32 v54, v217, v5
	v_mul_f32_e32 v5, v218, v5
	v_fmac_f32_e32 v21, v159, v3
	v_mul_f32_e32 v3, v160, v3
	v_fma_f32 v55, v217, v6, -v5
	v_sub_f32_e32 v61, v21, v18
	v_fma_f32 v56, v159, v4, -v3
	ds_read2st64_b64 v[3:6], v0 offset0:8 offset1:10
	v_sub_f32_e32 v60, v56, v19
	s_waitcnt lgkmcnt(0)
	v_mul_f32_e32 v57, v158, v6
	v_fmac_f32_e32 v57, v157, v5
	v_mul_f32_e32 v5, v158, v5
	v_fma_f32 v58, v157, v6, -v5
	v_add_f32_e32 v5, v14, v56
	v_add_f32_e32 v6, v13, v21
	;; [unrolled: 1-line block ×9, first 2 shown]
	v_sub_f32_e32 v53, v53, v8
	v_fma_f32 v13, -0.5, v6, v13
	v_fmac_f32_e32 v58, -0.5, v18
	v_add_f32_e32 v18, v57, v20
	v_fmac_f32_e32 v57, -0.5, v21
	v_add_f32_e32 v64, v19, v8
	v_fma_f32 v14, -0.5, v5, v14
	v_fmamk_f32 v67, v60, 0xbf5db3d7, v13
	v_add_f32_e32 v63, v18, v7
	ds_read2st64_b64 v[18:21], v0 offset0:4 offset1:6
	s_waitcnt lgkmcnt(0)
	s_barrier
	buffer_gl0_inv
	buffer_load_dword v69, off, s[20:23], 0 offset:308 ; 4-byte Folded Reload
	v_fmamk_f32 v7, v62, 0x3f5db3d7, v58
	v_fmamk_f32 v68, v61, 0x3f5db3d7, v14
	v_add_f32_e32 v5, v56, v63
	v_add_f32_e32 v6, v59, v64
	v_fmac_f32_e32 v58, 0xbf5db3d7, v62
	v_mul_f32_e32 v65, 0xbf5db3d7, v7
	v_mul_f32_e32 v66, 0.5, v7
	v_fmamk_f32 v7, v53, 0xbf5db3d7, v57
	v_fmac_f32_e32 v57, 0x3f5db3d7, v53
	v_mul_f32_e32 v53, 0xbf5db3d7, v58
	v_fmac_f32_e32 v13, 0x3f5db3d7, v60
	v_fmac_f32_e32 v14, 0xbf5db3d7, v61
	v_fmac_f32_e32 v65, 0.5, v7
	v_fmac_f32_e32 v66, 0x3f5db3d7, v7
	v_fmac_f32_e32 v53, -0.5, v57
	v_add_f32_e32 v7, v67, v65
	v_add_f32_e32 v8, v68, v66
	s_waitcnt vmcnt(0)
	ds_write2_b64 v69, v[5:6], v[7:8] offset1:10
	v_sub_f32_e32 v5, v56, v63
	v_mul_f32_e32 v56, -0.5, v58
	v_sub_f32_e32 v6, v59, v64
	v_add_f32_e32 v7, v13, v53
	v_fmac_f32_e32 v56, 0x3f5db3d7, v57
	buffer_load_dword v57, off, s[20:23], 0 offset:312 ; 4-byte Folded Reload
	v_add_f32_e32 v8, v14, v56
	ds_write2_b64 v69, v[7:8], v[5:6] offset0:20 offset1:30
	v_sub_f32_e32 v5, v67, v65
	v_sub_f32_e32 v6, v68, v66
	;; [unrolled: 1-line block ×5, first 2 shown]
	ds_write2_b64 v69, v[5:6], v[7:8] offset0:40 offset1:50
	v_add_f32_e32 v6, v55, v52
	v_add_f32_e32 v5, v16, v55
	;; [unrolled: 1-line block ×4, first 2 shown]
	v_fmac_f32_e32 v16, -0.5, v6
	v_add_f32_e32 v6, v50, v49
	v_add_f32_e32 v14, v5, v52
	;; [unrolled: 1-line block ×3, first 2 shown]
	v_sub_f32_e32 v50, v50, v49
	v_add_f32_e32 v49, v7, v49
	v_fmac_f32_e32 v32, -0.5, v6
	v_add_f32_e32 v6, v31, v26
	v_sub_f32_e32 v26, v26, v48
	v_add_f32_e32 v52, v5, v51
	v_add_f32_e32 v5, v54, v51
	v_fmac_f32_e32 v31, -0.5, v8
	v_add_f32_e32 v48, v6, v48
	v_fmamk_f32 v6, v26, 0x3f5db3d7, v32
	v_sub_f32_e32 v51, v54, v51
	v_fma_f32 v15, -0.5, v5, v15
	v_fmac_f32_e32 v32, 0xbf5db3d7, v26
	v_add_f32_e32 v5, v52, v48
	v_mul_f32_e32 v53, 0xbf5db3d7, v6
	v_mul_f32_e32 v54, 0.5, v6
	v_fmamk_f32 v6, v50, 0xbf5db3d7, v31
	v_fmamk_f32 v55, v13, 0xbf5db3d7, v15
	;; [unrolled: 1-line block ×3, first 2 shown]
	v_fmac_f32_e32 v15, 0x3f5db3d7, v13
	v_fmac_f32_e32 v31, 0x3f5db3d7, v50
	v_fmac_f32_e32 v53, 0.5, v6
	v_fmac_f32_e32 v54, 0x3f5db3d7, v6
	v_add_f32_e32 v6, v14, v49
	v_mul_f32_e32 v13, 0xbf5db3d7, v32
	v_fmac_f32_e32 v16, 0xbf5db3d7, v51
	v_add_f32_e32 v7, v55, v53
	v_add_f32_e32 v8, v56, v54
	v_fmac_f32_e32 v13, -0.5, v31
	s_waitcnt vmcnt(0)
	ds_write2_b64 v57, v[5:6], v[7:8] offset1:10
	v_sub_f32_e32 v6, v14, v49
	v_mul_f32_e32 v14, -0.5, v32
	v_sub_f32_e32 v5, v52, v48
	v_add_f32_e32 v7, v15, v13
	v_fmac_f32_e32 v14, 0x3f5db3d7, v31
	v_add_f32_e32 v8, v16, v14
	ds_write2_b64 v57, v[7:8], v[5:6] offset0:20 offset1:30
	v_sub_f32_e32 v6, v16, v14
	v_sub_f32_e32 v5, v15, v13
	;; [unrolled: 1-line block ×6, first 2 shown]
	ds_write2_b64 v57, v[7:8], v[5:6] offset0:40 offset1:50
	v_add_f32_e32 v6, v18, v23
	v_add_f32_e32 v5, v19, v24
	;; [unrolled: 1-line block ×6, first 2 shown]
	buffer_load_dword v36, off, s[20:23], 0 offset:320 ; 4-byte Folded Reload
	v_add_f32_e32 v13, v5, v27
	v_add_f32_e32 v5, v24, v27
	v_fmac_f32_e32 v30, -0.5, v7
	v_add_f32_e32 v7, v29, v28
	v_add_f32_e32 v23, v28, v46
	v_sub_f32_e32 v24, v28, v46
	v_fma_f32 v18, -0.5, v6, v18
	v_fma_f32 v19, -0.5, v5, v19
	v_add_f32_e32 v26, v7, v46
	v_fmac_f32_e32 v29, -0.5, v23
	v_sub_f32_e32 v23, v25, v47
	v_fmamk_f32 v7, v24, 0x3f5db3d7, v30
	v_add_f32_e32 v25, v8, v47
	v_fmamk_f32 v31, v14, 0xbf5db3d7, v18
	v_fmamk_f32 v32, v16, 0x3f5db3d7, v19
	v_add_f32_e32 v5, v15, v26
	v_mul_f32_e32 v27, 0xbf5db3d7, v7
	v_mul_f32_e32 v28, 0.5, v7
	v_fmamk_f32 v7, v23, 0xbf5db3d7, v29
	v_add_f32_e32 v6, v13, v25
	v_fmac_f32_e32 v30, 0xbf5db3d7, v24
	v_fmac_f32_e32 v18, 0x3f5db3d7, v14
	;; [unrolled: 1-line block ×3, first 2 shown]
	v_fmac_f32_e32 v27, 0.5, v7
	v_fmac_f32_e32 v28, 0x3f5db3d7, v7
	v_mul_f32_e32 v14, -0.5, v30
	v_fmac_f32_e32 v19, 0xbf5db3d7, v16
	v_sub_f32_e32 v16, v17, v34
	v_add_f32_e32 v7, v31, v27
	v_add_f32_e32 v8, v32, v28
	v_fmac_f32_e32 v14, 0x3f5db3d7, v29
	s_waitcnt vmcnt(0)
	ds_write2_b64 v36, v[5:6], v[7:8] offset1:10
	v_sub_f32_e32 v6, v13, v25
	v_mul_f32_e32 v13, 0xbf5db3d7, v30
	v_sub_f32_e32 v5, v15, v26
	v_add_f32_e32 v8, v19, v14
	v_fmac_f32_e32 v13, -0.5, v29
	v_add_f32_e32 v7, v18, v13
	ds_write2_b64 v36, v[7:8], v[5:6] offset0:20 offset1:30
	v_sub_f32_e32 v5, v31, v27
	buffer_load_dword v27, off, s[20:23], 0 offset:316 ; 4-byte Folded Reload
	v_sub_f32_e32 v6, v32, v28
	v_sub_f32_e32 v7, v18, v13
	;; [unrolled: 1-line block ×5, first 2 shown]
	ds_write2_b64 v36, v[5:6], v[7:8] offset0:40 offset1:50
	v_add_f32_e32 v5, v21, v22
	v_add_f32_e32 v6, v22, v35
	;; [unrolled: 1-line block ×5, first 2 shown]
	v_fmac_f32_e32 v21, -0.5, v6
	v_add_f32_e32 v5, v20, v17
	v_add_f32_e32 v6, v33, v45
	;; [unrolled: 1-line block ×3, first 2 shown]
	v_fmamk_f32 v26, v16, 0x3f5db3d7, v21
	v_add_f32_e32 v15, v5, v34
	v_add_f32_e32 v5, v17, v34
	v_fmac_f32_e32 v12, -0.5, v6
	v_add_f32_e32 v6, v11, v38
	v_sub_f32_e32 v17, v38, v44
	v_fmac_f32_e32 v11, -0.5, v8
	v_fma_f32 v20, -0.5, v5, v20
	v_fmac_f32_e32 v21, 0xbf5db3d7, v16
	v_add_f32_e32 v18, v6, v44
	v_fmamk_f32 v6, v17, 0x3f5db3d7, v12
	v_fmac_f32_e32 v12, 0xbf5db3d7, v17
	v_fmamk_f32 v25, v13, 0xbf5db3d7, v20
	v_fmac_f32_e32 v20, 0x3f5db3d7, v13
	v_add_f32_e32 v5, v15, v18
	v_mul_f32_e32 v23, 0xbf5db3d7, v6
	v_mul_f32_e32 v24, 0.5, v6
	v_fmamk_f32 v6, v19, 0xbf5db3d7, v11
	v_fmac_f32_e32 v11, 0x3f5db3d7, v19
	v_mul_f32_e32 v13, 0xbf5db3d7, v12
	v_mul_f32_e32 v12, -0.5, v12
	v_fmac_f32_e32 v23, 0.5, v6
	v_fmac_f32_e32 v24, 0x3f5db3d7, v6
	v_add_f32_e32 v6, v14, v22
	v_fmac_f32_e32 v13, -0.5, v11
	v_fmac_f32_e32 v12, 0x3f5db3d7, v11
	v_add_f32_e32 v7, v25, v23
	v_add_f32_e32 v8, v26, v24
	s_waitcnt vmcnt(0)
	ds_write2_b64 v27, v[5:6], v[7:8] offset1:10
	v_sub_f32_e32 v5, v15, v18
	v_sub_f32_e32 v6, v14, v22
	v_add_f32_e32 v7, v20, v13
	v_add_f32_e32 v8, v21, v12
	v_sub_f32_e32 v15, v37, v42
	ds_write2_b64 v27, v[7:8], v[5:6] offset0:20 offset1:30
	v_sub_f32_e32 v6, v21, v12
	buffer_load_dword v21, off, s[20:23], 0 offset:324 ; 4-byte Folded Reload
	v_sub_f32_e32 v5, v20, v13
	v_sub_f32_e32 v7, v25, v23
	;; [unrolled: 1-line block ×5, first 2 shown]
	ds_write2_b64 v27, v[7:8], v[5:6] offset0:40 offset1:50
	v_add_f32_e32 v5, v4, v2
	v_add_f32_e32 v6, v2, v40
	v_sub_f32_e32 v7, v2, v40
	v_add_f32_e32 v2, v3, v1
	v_add_f32_e32 v8, v5, v40
	v_fmac_f32_e32 v4, -0.5, v6
	v_add_f32_e32 v5, v10, v37
	v_add_f32_e32 v11, v2, v43
	;; [unrolled: 1-line block ×6, first 2 shown]
	v_fmamk_f32 v20, v12, 0x3f5db3d7, v4
	v_fma_f32 v3, -0.5, v2, v3
	v_fmac_f32_e32 v10, -0.5, v1
	v_add_f32_e32 v1, v9, v39
	v_fmac_f32_e32 v9, -0.5, v6
	v_add_f32_e32 v2, v8, v16
	v_fmamk_f32 v19, v7, 0xbf5db3d7, v3
	v_fmac_f32_e32 v3, 0x3f5db3d7, v7
	v_add_f32_e32 v14, v1, v41
	v_fmamk_f32 v1, v13, 0x3f5db3d7, v10
	v_fmac_f32_e32 v10, 0xbf5db3d7, v13
	v_fmac_f32_e32 v4, 0xbf5db3d7, v12
	v_mul_f32_e32 v17, 0xbf5db3d7, v1
	v_mul_f32_e32 v18, 0.5, v1
	v_fmamk_f32 v1, v15, 0xbf5db3d7, v9
	v_fmac_f32_e32 v9, 0x3f5db3d7, v15
	v_mul_f32_e32 v7, 0xbf5db3d7, v10
	v_fmac_f32_e32 v17, 0.5, v1
	v_fmac_f32_e32 v18, 0x3f5db3d7, v1
	v_add_f32_e32 v1, v11, v14
	v_fmac_f32_e32 v7, -0.5, v9
	v_add_f32_e32 v5, v19, v17
	v_add_f32_e32 v6, v20, v18
	s_waitcnt vmcnt(0)
	ds_write2_b64 v21, v[1:2], v[5:6] offset1:10
	v_sub_f32_e32 v2, v8, v16
	v_mul_f32_e32 v8, -0.5, v10
	v_sub_f32_e32 v1, v11, v14
	v_add_f32_e32 v5, v3, v7
	v_fmac_f32_e32 v8, 0x3f5db3d7, v9
	v_add_f32_e32 v6, v4, v8
	ds_write2_b64 v21, v[5:6], v[1:2] offset0:20 offset1:30
	v_sub_f32_e32 v2, v4, v8
	v_sub_f32_e32 v1, v3, v7
	v_sub_f32_e32 v3, v19, v17
	v_sub_f32_e32 v4, v20, v18
	ds_write2_b64 v21, v[3:4], v[1:2] offset0:40 offset1:50
	s_waitcnt lgkmcnt(0)
	s_barrier
	buffer_gl0_inv
	ds_read2st64_b64 v[1:4], v0 offset0:32 offset1:34
	s_clause 0x1
	buffer_load_dword v5, off, s[20:23], 0 offset:336
	buffer_load_dword v6, off, s[20:23], 0 offset:340
	s_waitcnt vmcnt(0) lgkmcnt(0)
	v_mul_f32_e32 v33, v6, v2
	v_fmac_f32_e32 v33, v5, v1
	v_mul_f32_e32 v1, v6, v1
	v_fma_f32 v34, v5, v2, -v1
	s_clause 0x1
	buffer_load_dword v5, off, s[20:23], 0 offset:328
	buffer_load_dword v6, off, s[20:23], 0 offset:332
	s_waitcnt vmcnt(0)
	v_mul_f32_e32 v35, v6, v4
	v_mul_f32_e32 v1, v6, v3
	v_fmac_f32_e32 v35, v5, v3
	v_fma_f32 v36, v5, v4, -v1
	ds_read2st64_b64 v[1:4], v0 offset0:36 offset1:38
	s_clause 0x1
	buffer_load_dword v5, off, s[20:23], 0 offset:344
	buffer_load_dword v6, off, s[20:23], 0 offset:348
	s_waitcnt vmcnt(0) lgkmcnt(0)
	v_mul_f32_e32 v37, v6, v2
	v_fmac_f32_e32 v37, v5, v1
	v_mul_f32_e32 v1, v6, v1
	v_fma_f32 v38, v5, v2, -v1
	s_clause 0x1
	buffer_load_dword v5, off, s[20:23], 0 offset:368
	buffer_load_dword v6, off, s[20:23], 0 offset:372
	s_waitcnt vmcnt(0)
	v_mul_f32_e32 v39, v6, v4
	v_mul_f32_e32 v1, v6, v3
	v_fmac_f32_e32 v39, v5, v3
	v_fma_f32 v40, v5, v4, -v1
	;; [unrolled: 17-line block ×7, first 2 shown]
	ds_read2st64_b64 v[1:4], v0 offset0:28 offset1:30
	s_clause 0x1
	buffer_load_dword v5, off, s[20:23], 0 offset:416
	buffer_load_dword v6, off, s[20:23], 0 offset:420
	s_waitcnt vmcnt(0) lgkmcnt(0)
	v_mul_f32_e32 v7, v6, v4
	v_fmac_f32_e32 v7, v5, v3
	v_mul_f32_e32 v3, v6, v3
	v_fma_f32 v8, v5, v4, -v3
	ds_read2st64_b64 v[3:6], v0 offset1:2
	ds_read2st64_b64 v[9:12], v0 offset0:4 offset1:6
	ds_read2st64_b64 v[13:16], v0 offset0:8 offset1:10
	ds_read2st64_b64 v[17:20], v0 offset0:12 offset1:14
	ds_read2st64_b64 v[21:24], v0 offset0:16 offset1:18
	ds_read2st64_b64 v[25:28], v0 offset0:20 offset1:22
	ds_read2st64_b64 v[29:32], v0 offset0:24 offset1:26
	s_waitcnt lgkmcnt(0)
	s_barrier
	buffer_gl0_inv
	buffer_load_dword v61, off, s[20:23], 0 offset:488 ; 4-byte Folded Reload
	v_sub_f32_e32 v7, v3, v7
	v_sub_f32_e32 v8, v4, v8
	v_fma_f32 v3, v3, 2.0, -v7
	v_fma_f32 v4, v4, 2.0, -v8
	s_waitcnt vmcnt(0)
	ds_write2_b64 v61, v[3:4], v[7:8] offset1:60
	buffer_load_dword v7, off, s[20:23], 0 offset:484 ; 4-byte Folded Reload
	v_sub_f32_e32 v3, v5, v33
	v_sub_f32_e32 v4, v6, v34
	v_fma_f32 v5, v5, 2.0, -v3
	v_fma_f32 v6, v6, 2.0, -v4
	s_waitcnt vmcnt(0)
	ds_write2_b64 v7, v[5:6], v[3:4] offset1:60
	;; [unrolled: 7-line block ×15, first 2 shown]
	s_waitcnt lgkmcnt(0)
	s_barrier
	buffer_gl0_inv
	ds_read2st64_b64 v[1:4], v0 offset0:32 offset1:34
	s_clause 0x1
	buffer_load_dword v5, off, s[20:23], 0 offset:516
	buffer_load_dword v6, off, s[20:23], 0 offset:520
	s_waitcnt vmcnt(0) lgkmcnt(0)
	v_mul_f32_e32 v33, v6, v2
	v_fmac_f32_e32 v33, v5, v1
	v_mul_f32_e32 v1, v6, v1
	v_fma_f32 v34, v5, v2, -v1
	s_clause 0x1
	buffer_load_dword v5, off, s[20:23], 0 offset:508
	buffer_load_dword v6, off, s[20:23], 0 offset:512
	s_waitcnt vmcnt(0)
	v_mul_f32_e32 v35, v6, v4
	v_mul_f32_e32 v1, v6, v3
	v_fmac_f32_e32 v35, v5, v3
	v_fma_f32 v36, v5, v4, -v1
	ds_read2st64_b64 v[1:4], v0 offset0:36 offset1:38
	s_clause 0x1
	buffer_load_dword v5, off, s[20:23], 0 offset:540
	buffer_load_dword v6, off, s[20:23], 0 offset:544
	s_waitcnt vmcnt(0) lgkmcnt(0)
	v_mul_f32_e32 v37, v6, v2
	v_fmac_f32_e32 v37, v5, v1
	v_mul_f32_e32 v1, v6, v1
	v_fma_f32 v38, v5, v2, -v1
	s_clause 0x1
	buffer_load_dword v5, off, s[20:23], 0 offset:588
	buffer_load_dword v6, off, s[20:23], 0 offset:592
	s_waitcnt vmcnt(0)
	v_mul_f32_e32 v39, v6, v4
	v_mul_f32_e32 v1, v6, v3
	v_fmac_f32_e32 v39, v5, v3
	v_fma_f32 v40, v5, v4, -v1
	;; [unrolled: 17-line block ×7, first 2 shown]
	ds_read2st64_b64 v[1:4], v0 offset0:28 offset1:30
	s_clause 0x1
	buffer_load_dword v5, off, s[20:23], 0 offset:628
	buffer_load_dword v6, off, s[20:23], 0 offset:632
	s_waitcnt vmcnt(0) lgkmcnt(0)
	v_mul_f32_e32 v7, v6, v4
	v_fmac_f32_e32 v7, v5, v3
	v_mul_f32_e32 v3, v6, v3
	v_fma_f32 v8, v5, v4, -v3
	ds_read2st64_b64 v[3:6], v0 offset1:2
	s_waitcnt lgkmcnt(0)
	v_sub_f32_e32 v31, v3, v7
	v_sub_f32_e32 v32, v4, v8
	ds_read2st64_b64 v[7:10], v0 offset0:4 offset1:6
	ds_read2st64_b64 v[11:14], v0 offset0:8 offset1:10
	;; [unrolled: 1-line block ×6, first 2 shown]
	s_waitcnt lgkmcnt(0)
	s_barrier
	buffer_gl0_inv
	buffer_load_dword v61, off, s[20:23], 0 offset:684 ; 4-byte Folded Reload
	v_fma_f32 v3, v3, 2.0, -v31
	v_fma_f32 v4, v4, 2.0, -v32
	s_waitcnt vmcnt(0)
	ds_write2_b64 v61, v[3:4], v[31:32] offset1:120
	buffer_load_dword v31, off, s[20:23], 0 offset:680 ; 4-byte Folded Reload
	v_sub_f32_e32 v3, v5, v33
	v_sub_f32_e32 v4, v6, v34
	v_add_nc_u32_e32 v61, 0x800, v0
	v_fma_f32 v5, v5, 2.0, -v3
	v_fma_f32 v6, v6, 2.0, -v4
	s_waitcnt vmcnt(0)
	ds_write2_b64 v31, v[5:6], v[3:4] offset1:120
	v_sub_f32_e32 v3, v7, v35
	v_sub_f32_e32 v4, v8, v36
	v_fma_f32 v5, v7, 2.0, -v3
	buffer_load_dword v7, off, s[20:23], 0 offset:676 ; 4-byte Folded Reload
	v_fma_f32 v6, v8, 2.0, -v4
	s_waitcnt vmcnt(0)
	ds_write2_b64 v7, v[5:6], v[3:4] offset1:120
	buffer_load_dword v7, off, s[20:23], 0 offset:672 ; 4-byte Folded Reload
	v_sub_f32_e32 v3, v9, v37
	v_sub_f32_e32 v4, v10, v38
	v_fma_f32 v5, v9, 2.0, -v3
	v_fma_f32 v6, v10, 2.0, -v4
	s_waitcnt vmcnt(0)
	ds_write2_b64 v7, v[5:6], v[3:4] offset1:120
	buffer_load_dword v7, off, s[20:23], 0 offset:668 ; 4-byte Folded Reload
	v_sub_f32_e32 v3, v11, v39
	v_sub_f32_e32 v4, v12, v40
	v_fma_f32 v5, v11, 2.0, -v3
	v_fma_f32 v6, v12, 2.0, -v4
	s_waitcnt vmcnt(0)
	ds_write2_b64 v7, v[5:6], v[3:4] offset1:120
	buffer_load_dword v7, off, s[20:23], 0 offset:664 ; 4-byte Folded Reload
	v_sub_f32_e32 v3, v13, v41
	v_sub_f32_e32 v4, v14, v42
	v_fma_f32 v5, v13, 2.0, -v3
	v_fma_f32 v6, v14, 2.0, -v4
	s_waitcnt vmcnt(0)
	ds_write2_b64 v7, v[5:6], v[3:4] offset1:120
	buffer_load_dword v7, off, s[20:23], 0 offset:660 ; 4-byte Folded Reload
	v_sub_f32_e32 v3, v15, v43
	v_sub_f32_e32 v4, v16, v44
	v_fma_f32 v5, v15, 2.0, -v3
	v_fma_f32 v6, v16, 2.0, -v4
	s_waitcnt vmcnt(0)
	ds_write2_b64 v7, v[5:6], v[3:4] offset1:120
	buffer_load_dword v7, off, s[20:23], 0 offset:576 ; 4-byte Folded Reload
	v_sub_f32_e32 v3, v17, v45
	v_sub_f32_e32 v4, v18, v46
	v_fma_f32 v5, v17, 2.0, -v3
	v_fma_f32 v6, v18, 2.0, -v4
	s_waitcnt vmcnt(0)
	ds_write2_b64 v7, v[5:6], v[3:4] offset1:120
	buffer_load_dword v7, off, s[20:23], 0 offset:556 ; 4-byte Folded Reload
	v_sub_f32_e32 v3, v19, v47
	v_sub_f32_e32 v4, v20, v48
	v_fma_f32 v5, v19, 2.0, -v3
	v_fma_f32 v6, v20, 2.0, -v4
	s_waitcnt vmcnt(0)
	ds_write2_b64 v7, v[5:6], v[3:4] offset1:120
	buffer_load_dword v7, off, s[20:23], 0 offset:552 ; 4-byte Folded Reload
	v_sub_f32_e32 v3, v21, v49
	v_sub_f32_e32 v4, v22, v50
	v_fma_f32 v5, v21, 2.0, -v3
	v_fma_f32 v6, v22, 2.0, -v4
	s_waitcnt vmcnt(0)
	ds_write2_b64 v7, v[5:6], v[3:4] offset1:120
	buffer_load_dword v7, off, s[20:23], 0 offset:548 ; 4-byte Folded Reload
	v_sub_f32_e32 v3, v23, v51
	v_sub_f32_e32 v4, v24, v52
	v_fma_f32 v5, v23, 2.0, -v3
	v_fma_f32 v6, v24, 2.0, -v4
	s_waitcnt vmcnt(0)
	ds_write2_b64 v7, v[5:6], v[3:4] offset1:120
	buffer_load_dword v7, off, s[20:23], 0 offset:536 ; 4-byte Folded Reload
	v_sub_f32_e32 v3, v25, v53
	v_sub_f32_e32 v4, v26, v54
	v_fma_f32 v5, v25, 2.0, -v3
	v_fma_f32 v6, v26, 2.0, -v4
	s_waitcnt vmcnt(0)
	ds_write2_b64 v7, v[5:6], v[3:4] offset1:120
	buffer_load_dword v7, off, s[20:23], 0 offset:532 ; 4-byte Folded Reload
	v_sub_f32_e32 v3, v27, v55
	v_sub_f32_e32 v4, v28, v56
	v_fma_f32 v5, v27, 2.0, -v3
	v_fma_f32 v6, v28, 2.0, -v4
	s_waitcnt vmcnt(0)
	ds_write2_b64 v7, v[5:6], v[3:4] offset1:120
	buffer_load_dword v7, off, s[20:23], 0 offset:528 ; 4-byte Folded Reload
	v_sub_f32_e32 v3, v29, v57
	v_sub_f32_e32 v4, v30, v58
	v_fma_f32 v5, v29, 2.0, -v3
	v_fma_f32 v6, v30, 2.0, -v4
	s_waitcnt vmcnt(0)
	ds_write2_b64 v7, v[5:6], v[3:4] offset1:120
	buffer_load_dword v5, off, s[20:23], 0 offset:524 ; 4-byte Folded Reload
	v_sub_f32_e32 v3, v1, v59
	v_sub_f32_e32 v4, v2, v60
	v_fma_f32 v1, v1, 2.0, -v3
	v_fma_f32 v2, v2, 2.0, -v4
	s_waitcnt vmcnt(0)
	ds_write2_b64 v5, v[1:2], v[3:4] offset1:120
	s_waitcnt lgkmcnt(0)
	s_barrier
	buffer_gl0_inv
	ds_read2st64_b64 v[1:4], v0 offset0:32 offset1:34
	s_waitcnt lgkmcnt(0)
	v_mul_f32_e32 v7, v233, v2
	v_mul_f32_e32 v35, v237, v4
	v_fmac_f32_e32 v7, v232, v1
	v_mul_f32_e32 v1, v233, v1
	v_fmac_f32_e32 v35, v236, v3
	v_fma_f32 v8, v232, v2, -v1
	v_mul_f32_e32 v1, v237, v3
	v_fma_f32 v36, v236, v4, -v1
	ds_read2st64_b64 v[1:4], v0 offset0:36 offset1:38
	s_waitcnt lgkmcnt(0)
	v_mul_f32_e32 v37, v235, v2
	v_mul_f32_e32 v39, v203, v4
	v_fmac_f32_e32 v37, v234, v1
	v_mul_f32_e32 v1, v235, v1
	v_fmac_f32_e32 v39, v202, v3
	v_fma_f32 v38, v234, v2, -v1
	v_mul_f32_e32 v1, v203, v3
	v_fma_f32 v40, v202, v4, -v1
	;; [unrolled: 10-line block ×7, first 2 shown]
	ds_read2st64_b64 v[1:4], v0 offset0:28 offset1:30
	s_waitcnt lgkmcnt(0)
	v_mul_f32_e32 v9, v239, v4
	v_fmac_f32_e32 v9, v238, v3
	v_mul_f32_e32 v3, v239, v3
	v_fma_f32 v10, v238, v4, -v3
	ds_read2st64_b64 v[3:6], v0 offset1:2
	s_waitcnt lgkmcnt(0)
	v_sub_f32_e32 v27, v3, v9
	v_sub_f32_e32 v28, v4, v10
	;; [unrolled: 1-line block ×4, first 2 shown]
	v_fma_f32 v31, v3, 2.0, -v27
	v_fma_f32 v32, v4, 2.0, -v28
	;; [unrolled: 1-line block ×4, first 2 shown]
	ds_read2st64_b64 v[3:6], v0 offset0:4 offset1:6
	ds_read2st64_b64 v[7:10], v0 offset0:8 offset1:10
	;; [unrolled: 1-line block ×6, first 2 shown]
	s_waitcnt lgkmcnt(0)
	s_barrier
	buffer_gl0_inv
	ds_write2_b64 v0, v[31:32], v[27:28] offset1:240
	buffer_load_dword v27, off, s[20:23], 0 offset:736 ; 4-byte Folded Reload
	v_sub_f32_e32 v28, v4, v36
	v_fma_f32 v4, v4, 2.0, -v28
	s_waitcnt vmcnt(0)
	ds_write2_b64 v27, v[33:34], v[29:30] offset1:240
	v_sub_f32_e32 v27, v3, v35
	v_add_nc_u32_e32 v29, 0xf80, v0
	v_fma_f32 v3, v3, 2.0, -v27
	ds_write2_b64 v29, v[3:4], v[27:28] offset1:240
	buffer_load_dword v27, off, s[20:23], 0 offset:732 ; 4-byte Folded Reload
	v_sub_f32_e32 v3, v5, v37
	v_sub_f32_e32 v4, v6, v38
	v_fma_f32 v5, v5, 2.0, -v3
	v_fma_f32 v6, v6, 2.0, -v4
	s_waitcnt vmcnt(0)
	ds_write2_b64 v27, v[5:6], v[3:4] offset1:240
	v_sub_f32_e32 v3, v7, v39
	v_sub_f32_e32 v4, v8, v40
	v_fma_f32 v5, v7, 2.0, -v3
	buffer_load_dword v7, off, s[20:23], 0 offset:728 ; 4-byte Folded Reload
	v_fma_f32 v6, v8, 2.0, -v4
	s_waitcnt vmcnt(0)
	ds_write2_b64 v7, v[5:6], v[3:4] offset1:240
	buffer_load_dword v7, off, s[20:23], 0 offset:724 ; 4-byte Folded Reload
	v_sub_f32_e32 v3, v9, v41
	v_sub_f32_e32 v4, v10, v42
	v_fma_f32 v5, v9, 2.0, -v3
	v_fma_f32 v6, v10, 2.0, -v4
	s_waitcnt vmcnt(0)
	ds_write2_b64 v7, v[5:6], v[3:4] offset1:240
	buffer_load_dword v7, off, s[20:23], 0 offset:720 ; 4-byte Folded Reload
	v_sub_f32_e32 v3, v11, v43
	v_sub_f32_e32 v4, v12, v44
	v_fma_f32 v5, v11, 2.0, -v3
	v_fma_f32 v6, v12, 2.0, -v4
	s_waitcnt vmcnt(0)
	ds_write2_b64 v7, v[5:6], v[3:4] offset1:240
	buffer_load_dword v7, off, s[20:23], 0 offset:716 ; 4-byte Folded Reload
	v_sub_f32_e32 v3, v13, v45
	v_sub_f32_e32 v4, v14, v46
	v_fma_f32 v5, v13, 2.0, -v3
	v_fma_f32 v6, v14, 2.0, -v4
	s_waitcnt vmcnt(0)
	ds_write2_b64 v7, v[5:6], v[3:4] offset1:240
	buffer_load_dword v7, off, s[20:23], 0 offset:712 ; 4-byte Folded Reload
	v_sub_f32_e32 v3, v15, v47
	v_sub_f32_e32 v4, v16, v48
	v_fma_f32 v5, v15, 2.0, -v3
	v_fma_f32 v6, v16, 2.0, -v4
	s_waitcnt vmcnt(0)
	ds_write2_b64 v7, v[5:6], v[3:4] offset1:240
	buffer_load_dword v7, off, s[20:23], 0 offset:708 ; 4-byte Folded Reload
	v_sub_f32_e32 v3, v17, v49
	v_sub_f32_e32 v4, v18, v50
	v_fma_f32 v5, v17, 2.0, -v3
	v_fma_f32 v6, v18, 2.0, -v4
	s_waitcnt vmcnt(0)
	ds_write2_b64 v7, v[5:6], v[3:4] offset1:240
	buffer_load_dword v7, off, s[20:23], 0 offset:704 ; 4-byte Folded Reload
	v_sub_f32_e32 v3, v19, v51
	v_sub_f32_e32 v4, v20, v52
	v_fma_f32 v5, v19, 2.0, -v3
	v_fma_f32 v6, v20, 2.0, -v4
	s_waitcnt vmcnt(0)
	ds_write2_b64 v7, v[5:6], v[3:4] offset1:240
	buffer_load_dword v7, off, s[20:23], 0 offset:700 ; 4-byte Folded Reload
	v_sub_f32_e32 v3, v21, v53
	v_sub_f32_e32 v4, v22, v54
	v_fma_f32 v5, v21, 2.0, -v3
	v_fma_f32 v6, v22, 2.0, -v4
	s_waitcnt vmcnt(0)
	ds_write2_b64 v7, v[5:6], v[3:4] offset1:240
	buffer_load_dword v7, off, s[20:23], 0 offset:696 ; 4-byte Folded Reload
	v_sub_f32_e32 v3, v23, v55
	v_sub_f32_e32 v4, v24, v56
	v_fma_f32 v5, v23, 2.0, -v3
	v_fma_f32 v6, v24, 2.0, -v4
	s_waitcnt vmcnt(0)
	ds_write2_b64 v7, v[5:6], v[3:4] offset1:240
	buffer_load_dword v7, off, s[20:23], 0 offset:692 ; 4-byte Folded Reload
	v_sub_f32_e32 v3, v25, v57
	v_sub_f32_e32 v4, v26, v58
	v_fma_f32 v5, v25, 2.0, -v3
	v_fma_f32 v6, v26, 2.0, -v4
	s_waitcnt vmcnt(0)
	ds_write2_b64 v7, v[5:6], v[3:4] offset1:240
	buffer_load_dword v5, off, s[20:23], 0 offset:688 ; 4-byte Folded Reload
	v_sub_f32_e32 v3, v1, v59
	v_sub_f32_e32 v4, v2, v60
	v_fma_f32 v1, v1, 2.0, -v3
	v_fma_f32 v2, v2, 2.0, -v4
	s_waitcnt vmcnt(0)
	ds_write2_b64 v5, v[1:2], v[3:4] offset1:240
	s_waitcnt lgkmcnt(0)
	s_barrier
	buffer_gl0_inv
	ds_read2st64_b64 v[1:4], v0 offset0:32 offset1:34
	s_waitcnt lgkmcnt(0)
	v_mul_f32_e32 v35, v188, v2
	v_mul_f32_e32 v7, v190, v4
	v_fmac_f32_e32 v35, v187, v1
	v_mul_f32_e32 v1, v188, v1
	v_fmac_f32_e32 v7, v189, v3
	v_fma_f32 v36, v187, v2, -v1
	v_mul_f32_e32 v1, v190, v3
	v_fma_f32 v8, v189, v4, -v1
	ds_read2st64_b64 v[1:4], v0 offset0:36 offset1:38
	s_waitcnt lgkmcnt(0)
	v_mul_f32_e32 v37, v186, v2
	v_mul_f32_e32 v39, v192, v4
	v_fmac_f32_e32 v37, v185, v1
	v_mul_f32_e32 v1, v186, v1
	v_fmac_f32_e32 v39, v191, v3
	v_fma_f32 v38, v185, v2, -v1
	v_mul_f32_e32 v1, v192, v3
	v_fma_f32 v40, v191, v4, -v1
	ds_read2st64_b64 v[1:4], v0 offset0:40 offset1:42
	s_waitcnt lgkmcnt(0)
	v_mul_f32_e32 v41, v194, v2
	v_mul_f32_e32 v43, v196, v4
	v_fmac_f32_e32 v41, v193, v1
	v_mul_f32_e32 v1, v194, v1
	v_fmac_f32_e32 v43, v195, v3
	v_fma_f32 v42, v193, v2, -v1
	v_mul_f32_e32 v1, v196, v3
	v_fma_f32 v44, v195, v4, -v1
	ds_read2st64_b64 v[1:4], v0 offset0:44 offset1:46
	s_waitcnt lgkmcnt(0)
	v_mul_f32_e32 v45, v199, v2
	v_mul_f32_e32 v47, v172, v4
	v_fmac_f32_e32 v45, v198, v1
	v_mul_f32_e32 v1, v199, v1
	v_fmac_f32_e32 v47, v171, v3
	v_fma_f32 v46, v198, v2, -v1
	v_mul_f32_e32 v1, v172, v3
	v_fma_f32 v48, v171, v4, -v1
	ds_read2st64_b64 v[1:4], v0 offset0:48 offset1:50
	s_waitcnt lgkmcnt(0)
	v_mul_f32_e32 v49, v224, v2
	v_mul_f32_e32 v51, v180, v4
	v_fmac_f32_e32 v49, v223, v1
	v_mul_f32_e32 v1, v224, v1
	v_fmac_f32_e32 v51, v179, v3
	v_fma_f32 v50, v223, v2, -v1
	v_mul_f32_e32 v1, v180, v3
	v_fma_f32 v52, v179, v4, -v1
	ds_read2st64_b64 v[1:4], v0 offset0:52 offset1:54
	s_waitcnt lgkmcnt(0)
	v_mul_f32_e32 v53, v182, v2
	v_mul_f32_e32 v55, v170, v4
	v_fmac_f32_e32 v53, v181, v1
	v_mul_f32_e32 v1, v182, v1
	v_fmac_f32_e32 v55, v169, v3
	v_fma_f32 v54, v181, v2, -v1
	v_mul_f32_e32 v1, v170, v3
	v_fma_f32 v56, v169, v4, -v1
	ds_read2st64_b64 v[1:4], v0 offset0:56 offset1:58
	s_waitcnt lgkmcnt(0)
	v_mul_f32_e32 v57, v176, v2
	v_mul_f32_e32 v59, v178, v4
	v_fmac_f32_e32 v57, v175, v1
	v_mul_f32_e32 v1, v176, v1
	v_fmac_f32_e32 v59, v177, v3
	v_fma_f32 v58, v175, v2, -v1
	v_mul_f32_e32 v1, v178, v3
	v_fma_f32 v60, v177, v4, -v1
	ds_read2st64_b64 v[1:4], v0 offset0:28 offset1:30
	s_waitcnt lgkmcnt(0)
	v_mul_f32_e32 v11, v184, v4
	v_fmac_f32_e32 v11, v183, v3
	v_mul_f32_e32 v3, v184, v3
	v_fma_f32 v12, v183, v4, -v3
	ds_read2st64_b64 v[3:6], v0 offset0:4 offset1:6
	s_waitcnt lgkmcnt(0)
	v_sub_f32_e32 v31, v3, v7
	v_sub_f32_e32 v32, v4, v8
	ds_read2st64_b64 v[7:10], v0 offset1:2
	v_fma_f32 v3, v3, 2.0, -v31
	v_fma_f32 v4, v4, 2.0, -v32
	s_waitcnt lgkmcnt(0)
	v_sub_f32_e32 v33, v7, v11
	v_sub_f32_e32 v34, v8, v12
	ds_read2st64_b64 v[11:14], v0 offset0:8 offset1:10
	ds_read2st64_b64 v[15:18], v0 offset0:12 offset1:14
	;; [unrolled: 1-line block ×5, first 2 shown]
	s_waitcnt lgkmcnt(0)
	s_barrier
	buffer_gl0_inv
	ds_write2_b64 v61, v[3:4], v[33:34] offset1:224
	v_fma_f32 v3, v7, 2.0, -v33
	v_fma_f32 v4, v8, 2.0, -v34
	v_sub_f32_e32 v7, v9, v35
	v_sub_f32_e32 v8, v10, v36
	;; [unrolled: 1-line block ×4, first 2 shown]
	v_fma_f32 v9, v9, 2.0, -v7
	v_fma_f32 v10, v10, 2.0, -v8
	;; [unrolled: 1-line block ×4, first 2 shown]
	v_sub_f32_e32 v35, v11, v39
	v_sub_f32_e32 v36, v12, v40
	ds_write2st64_b64 v0, v[3:4], v[9:10] offset1:2
	buffer_load_dword v4, off, s[20:23], 0 offset:772 ; 4-byte Folded Reload
	v_sub_f32_e32 v37, v13, v41
	v_sub_f32_e32 v38, v14, v42
	v_add_nc_u32_e32 v3, 0x100, v0
	v_fma_f32 v11, v11, 2.0, -v35
	v_fma_f32 v12, v12, 2.0, -v36
	;; [unrolled: 1-line block ×4, first 2 shown]
	ds_write2st64_b64 v3, v[7:8], v[31:32] offset0:9 offset1:11
	s_waitcnt vmcnt(0)
	ds_write_b64 v4, v[5:6]
	ds_write_b64 v4, v[33:34] offset:3840
	ds_write2st64_b64 v3, v[11:12], v[13:14] offset0:15 offset1:17
	v_sub_f32_e32 v3, v15, v43
	v_sub_f32_e32 v4, v16, v44
	v_add_nc_u32_e32 v7, 0x2700, v0
	v_sub_f32_e32 v9, v19, v47
	v_sub_f32_e32 v10, v20, v48
	v_fma_f32 v5, v15, 2.0, -v3
	ds_write2st64_b64 v0, v[37:38], v[3:4] offset0:25 offset1:27
	buffer_load_dword v3, off, s[20:23], 0 offset:752 ; 4-byte Folded Reload
	v_fma_f32 v6, v16, 2.0, -v4
	v_fma_f32 v13, v19, 2.0, -v9
	;; [unrolled: 1-line block ×3, first 2 shown]
	v_sub_f32_e32 v11, v21, v49
	v_sub_f32_e32 v12, v22, v50
	ds_write2_b64 v7, v[5:6], v[35:36] offset1:224
	v_sub_f32_e32 v5, v17, v45
	v_sub_f32_e32 v6, v18, v46
	v_fma_f32 v15, v21, 2.0, -v11
	v_fma_f32 v16, v22, 2.0, -v12
	v_sub_f32_e32 v19, v25, v53
	v_fma_f32 v7, v17, 2.0, -v5
	v_fma_f32 v8, v18, 2.0, -v6
	s_waitcnt vmcnt(0)
	ds_write_b64 v3, v[7:8]
	ds_write_b64 v3, v[5:6] offset:3840
	buffer_load_dword v3, off, s[20:23], 0 offset:748 ; 4-byte Folded Reload
	s_waitcnt vmcnt(0)
	ds_write_b64 v3, v[13:14] offset:15360
	ds_write_b64 v3, v[9:10] offset:19200
	buffer_load_dword v3, off, s[20:23], 0 offset:744 ; 4-byte Folded Reload
	s_waitcnt vmcnt(0)
	ds_write_b64 v3, v[15:16] offset:15360
	ds_write_b64 v3, v[11:12] offset:19200
	buffer_load_dword v3, off, s[20:23], 0 offset:740 ; 4-byte Folded Reload
	v_sub_f32_e32 v17, v23, v51
	v_sub_f32_e32 v18, v24, v52
	;; [unrolled: 1-line block ×5, first 2 shown]
	v_fma_f32 v21, v23, 2.0, -v17
	v_fma_f32 v22, v24, 2.0, -v18
	s_waitcnt vmcnt(0)
	ds_write_b64 v3, v[21:22] offset:15360
	ds_write_b64 v3, v[17:18] offset:19200
	buffer_load_dword v3, off, s[20:23], 0 offset:768 ; 4-byte Folded Reload
	v_fma_f32 v23, v25, 2.0, -v19
	v_fma_f32 v24, v26, 2.0, -v20
	s_waitcnt vmcnt(0)
	ds_write_b64 v3, v[23:24]
	ds_write_b64 v3, v[19:20] offset:3840
	buffer_load_dword v3, off, s[20:23], 0 offset:764 ; 4-byte Folded Reload
	v_sub_f32_e32 v25, v27, v55
	v_sub_f32_e32 v26, v28, v56
	v_fma_f32 v29, v29, 2.0, -v31
	v_fma_f32 v30, v30, 2.0, -v32
	v_sub_f32_e32 v33, v1, v59
	v_fma_f32 v27, v27, 2.0, -v25
	v_fma_f32 v28, v28, 2.0, -v26
	s_waitcnt vmcnt(0)
	ds_write_b64 v3, v[27:28] offset:23040
	ds_write_b64 v3, v[25:26] offset:26880
	buffer_load_dword v3, off, s[20:23], 0 offset:760 ; 4-byte Folded Reload
	s_waitcnt vmcnt(0)
	ds_write_b64 v3, v[29:30] offset:23040
	ds_write_b64 v3, v[31:32] offset:26880
	buffer_load_dword v3, off, s[20:23], 0 offset:756 ; 4-byte Folded Reload
	v_sub_f32_e32 v34, v2, v60
	v_fma_f32 v1, v1, 2.0, -v33
	v_fma_f32 v2, v2, 2.0, -v34
	s_waitcnt vmcnt(0)
	ds_write_b64 v3, v[1:2] offset:23040
	ds_write_b64 v3, v[33:34] offset:26880
	s_waitcnt lgkmcnt(0)
	s_barrier
	buffer_gl0_inv
	ds_read2st64_b64 v[1:4], v0 offset0:32 offset1:34
	s_waitcnt lgkmcnt(0)
	v_mul_f32_e32 v7, v138, v2
	v_mul_f32_e32 v9, v140, v4
	v_fmac_f32_e32 v7, v137, v1
	v_mul_f32_e32 v1, v138, v1
	v_fmac_f32_e32 v9, v139, v3
	v_fma_f32 v8, v137, v2, -v1
	v_mul_f32_e32 v1, v140, v3
	v_fma_f32 v10, v139, v4, -v1
	ds_read2st64_b64 v[1:4], v0 offset0:36 offset1:38
	s_waitcnt lgkmcnt(0)
	v_mul_f32_e32 v11, v130, v2
	v_mul_f32_e32 v13, v136, v4
	v_fmac_f32_e32 v11, v129, v1
	v_mul_f32_e32 v1, v130, v1
	v_fmac_f32_e32 v13, v135, v3
	v_fma_f32 v12, v129, v2, -v1
	v_mul_f32_e32 v1, v136, v3
	v_fma_f32 v14, v135, v4, -v1
	;; [unrolled: 10-line block ×7, first 2 shown]
	ds_read2st64_b64 v[1:4], v0 offset0:28 offset1:30
	s_waitcnt lgkmcnt(0)
	v_mul_f32_e32 v15, v174, v4
	v_fmac_f32_e32 v15, v173, v3
	v_mul_f32_e32 v3, v174, v3
	v_fma_f32 v16, v173, v4, -v3
	ds_read2st64_b64 v[3:6], v0 offset1:2
	s_waitcnt lgkmcnt(0)
	v_sub_f32_e32 v15, v3, v15
	v_sub_f32_e32 v16, v4, v16
	v_sub_f32_e32 v17, v5, v7
	v_sub_f32_e32 v18, v6, v8
	v_fma_f32 v19, v3, 2.0, -v15
	v_fma_f32 v20, v4, 2.0, -v16
	v_fma_f32 v21, v5, 2.0, -v17
	v_fma_f32 v22, v6, 2.0, -v18
	ds_read2st64_b64 v[3:6], v0 offset0:4 offset1:6
	s_waitcnt lgkmcnt(0)
	v_sub_f32_e32 v23, v3, v9
	v_sub_f32_e32 v24, v4, v10
	v_sub_f32_e32 v25, v5, v11
	v_sub_f32_e32 v26, v6, v12
	v_fma_f32 v27, v3, 2.0, -v23
	v_fma_f32 v28, v4, 2.0, -v24
	v_fma_f32 v29, v5, 2.0, -v25
	v_fma_f32 v30, v6, 2.0, -v26
	ds_read2st64_b64 v[3:6], v0 offset0:8 offset1:10
	;; [unrolled: 10-line block ×4, first 2 shown]
	ds_read2st64_b64 v[7:10], v0 offset0:20 offset1:22
	ds_read2st64_b64 v[11:14], v0 offset0:24 offset1:26
	s_waitcnt lgkmcnt(0)
	s_barrier
	buffer_gl0_inv
	ds_write2st64_b64 v0, v[19:20], v[21:22] offset1:2
	ds_write2st64_b64 v0, v[17:18], v[23:24] offset0:17 offset1:19
	ds_write2st64_b64 v0, v[27:28], v[29:30] offset0:4 offset1:6
	ds_write2st64_b64 v0, v[25:26], v[31:32] offset0:21 offset1:23
	ds_write2st64_b64 v0, v[35:36], v[37:38] offset0:8 offset1:10
	ds_write2st64_b64 v0, v[43:44], v[15:16] offset0:12 offset1:15
	ds_write2st64_b64 v0, v[33:34], v[39:40] offset0:25 offset1:27
	buffer_load_dword v15, off, s[20:23], 0 offset:776 ; 4-byte Folded Reload
	v_sub_f32_e32 v27, v1, v59
	v_sub_f32_e32 v28, v2, v60
	v_fma_f32 v1, v1, 2.0, -v27
	v_fma_f32 v2, v2, 2.0, -v28
	v_sub_f32_e32 v16, v4, v48
	v_sub_f32_e32 v17, v5, v49
	;; [unrolled: 1-line block ×11, first 2 shown]
	v_fma_f32 v4, v4, 2.0, -v16
	v_fma_f32 v5, v5, 2.0, -v17
	;; [unrolled: 1-line block ×11, first 2 shown]
	s_waitcnt vmcnt(0)
	ds_write2st64_b64 v15, v[45:46], v[41:42] offset1:15
	v_sub_f32_e32 v15, v3, v47
	v_fma_f32 v3, v3, 2.0, -v15
	ds_write2st64_b64 v0, v[3:4], v[5:6] offset0:31 offset1:33
	ds_write2st64_b64 v0, v[17:18], v[19:20] offset0:48 offset1:50
	;; [unrolled: 1-line block ×7, first 2 shown]
	s_waitcnt lgkmcnt(0)
	s_barrier
	buffer_gl0_inv
	ds_read2st64_b64 v[1:4], v0 offset0:32 offset1:34
	ds_read2st64_b64 v[5:8], v0 offset0:36 offset1:38
	;; [unrolled: 1-line block ×4, first 2 shown]
	s_waitcnt lgkmcnt(3)
	v_mul_f32_e32 v21, v150, v2
	v_mul_f32_e32 v17, v150, v1
	v_mul_f32_e32 v27, v205, v4
	v_mul_f32_e32 v18, v205, v3
	s_waitcnt lgkmcnt(2)
	v_mul_f32_e32 v29, v168, v6
	v_fmac_f32_e32 v21, v149, v1
	v_fma_f32 v22, v149, v2, -v17
	v_fmac_f32_e32 v27, v204, v3
	v_fma_f32 v28, v204, v4, -v18
	ds_read2st64_b64 v[1:4], v0 offset0:48 offset1:50
	v_mul_f32_e32 v17, v168, v5
	v_mul_f32_e32 v34, v104, v8
	;; [unrolled: 1-line block ×3, first 2 shown]
	s_waitcnt lgkmcnt(2)
	v_mul_f32_e32 v37, v110, v10
	v_fmac_f32_e32 v29, v167, v5
	v_fma_f32 v30, v167, v6, -v17
	v_fmac_f32_e32 v34, v103, v7
	v_fma_f32 v36, v103, v8, -v18
	v_fmac_f32_e32 v37, v109, v9
	v_mul_f32_e32 v9, v110, v9
	v_mul_f32_e32 v39, v108, v12
	;; [unrolled: 1-line block ×3, first 2 shown]
	ds_read2st64_b64 v[5:8], v0 offset0:52 offset1:54
	s_waitcnt lgkmcnt(2)
	v_mul_f32_e32 v18, v112, v13
	v_fma_f32 v38, v109, v10, -v9
	v_fmac_f32_e32 v39, v107, v11
	v_fma_f32 v40, v107, v12, -v17
	ds_read2st64_b64 v[9:12], v0 offset0:56 offset1:58
	v_fma_f32 v42, v111, v14, -v18
	ds_read2st64_b64 v[17:20], v0 offset0:28 offset1:30
	s_waitcnt lgkmcnt(3)
	v_mul_f32_e32 v45, v118, v2
	v_mul_f32_e32 v41, v112, v14
	;; [unrolled: 1-line block ×5, first 2 shown]
	v_fmac_f32_e32 v45, v117, v1
	v_mul_f32_e32 v1, v122, v3
	v_fma_f32 v46, v117, v2, -v14
	v_fmac_f32_e32 v47, v121, v3
	v_fmac_f32_e32 v41, v111, v13
	v_mul_f32_e32 v13, v116, v15
	v_fma_f32 v48, v121, v4, -v1
	s_waitcnt lgkmcnt(2)
	v_mul_f32_e32 v49, v124, v6
	v_mul_f32_e32 v2, v124, v5
	;; [unrolled: 1-line block ×4, first 2 shown]
	v_fmac_f32_e32 v43, v115, v15
	v_fmac_f32_e32 v49, v123, v5
	v_fma_f32 v50, v123, v6, -v2
	v_fma_f32 v56, v113, v8, -v1
	s_waitcnt lgkmcnt(1)
	v_mul_f32_e32 v5, v120, v9
	ds_read2st64_b64 v[1:4], v0 offset0:4 offset1:6
	s_waitcnt lgkmcnt(1)
	v_mul_f32_e32 v6, v146, v19
	v_fmac_f32_e32 v55, v113, v7
	v_mul_f32_e32 v57, v120, v10
	v_fma_f32 v58, v119, v10, -v5
	v_fma_f32 v44, v115, v16, -v13
	;; [unrolled: 1-line block ×3, first 2 shown]
	ds_read2st64_b64 v[5:8], v0 offset0:8 offset1:10
	ds_read2st64_b64 v[13:16], v0 offset1:2
	v_mul_f32_e32 v23, v146, v20
	v_fmac_f32_e32 v57, v119, v9
	v_mul_f32_e32 v59, v134, v12
	v_mul_f32_e32 v9, v134, v11
	v_fmac_f32_e32 v23, v145, v19
	v_fmac_f32_e32 v59, v133, v11
	v_fma_f32 v60, v133, v12, -v9
	s_waitcnt lgkmcnt(2)
	v_sub_f32_e32 v27, v1, v27
	v_sub_f32_e32 v28, v2, v28
	;; [unrolled: 1-line block ×5, first 2 shown]
	v_fma_f32 v31, v1, 2.0, -v27
	v_fma_f32 v32, v2, 2.0, -v28
	;; [unrolled: 1-line block ×3, first 2 shown]
	s_waitcnt lgkmcnt(1)
	v_sub_f32_e32 v35, v5, v34
	v_fma_f32 v34, v4, 2.0, -v30
	ds_read2st64_b64 v[1:4], v0 offset0:20 offset1:22
	s_waitcnt lgkmcnt(1)
	v_sub_f32_e32 v19, v13, v23
	v_sub_f32_e32 v20, v14, v10
	;; [unrolled: 1-line block ×4, first 2 shown]
	ds_read2st64_b64 v[9:12], v0 offset0:12 offset1:14
	v_fma_f32 v23, v13, 2.0, -v19
	v_fma_f32 v24, v14, 2.0, -v20
	;; [unrolled: 1-line block ×4, first 2 shown]
	ds_read2st64_b64 v[13:16], v0 offset0:16 offset1:18
	v_sub_f32_e32 v36, v6, v36
	v_sub_f32_e32 v37, v7, v37
	v_sub_f32_e32 v38, v8, v38
	v_sub_f32_e32 v60, v18, v60
	v_fma_f32 v5, v5, 2.0, -v35
	v_fma_f32 v6, v6, 2.0, -v36
	;; [unrolled: 1-line block ×5, first 2 shown]
	s_waitcnt lgkmcnt(2)
	v_sub_f32_e32 v47, v1, v47
	v_sub_f32_e32 v48, v2, v48
	;; [unrolled: 1-line block ×4, first 2 shown]
	v_fma_f32 v18, v18, 2.0, -v60
	v_fma_f32 v51, v1, 2.0, -v47
	;; [unrolled: 1-line block ×5, first 2 shown]
	ds_read2st64_b64 v[1:4], v0 offset0:24 offset1:26
	s_waitcnt lgkmcnt(2)
	v_sub_f32_e32 v39, v9, v39
	v_sub_f32_e32 v40, v10, v40
	;; [unrolled: 1-line block ×4, first 2 shown]
	s_waitcnt lgkmcnt(1)
	v_sub_f32_e32 v43, v13, v43
	v_sub_f32_e32 v45, v15, v45
	;; [unrolled: 1-line block ×4, first 2 shown]
	v_fma_f32 v9, v9, 2.0, -v39
	v_fma_f32 v10, v10, 2.0, -v40
	;; [unrolled: 1-line block ×8, first 2 shown]
	s_waitcnt lgkmcnt(0)
	v_sub_f32_e32 v55, v1, v55
	v_sub_f32_e32 v56, v2, v56
	;; [unrolled: 1-line block ×4, first 2 shown]
	v_fma_f32 v1, v1, 2.0, -v55
	v_fma_f32 v2, v2, 2.0, -v56
	;; [unrolled: 1-line block ×4, first 2 shown]
	ds_write2st64_b64 v0, v[23:24], v[25:26] offset1:2
	ds_write2st64_b64 v0, v[21:22], v[27:28] offset0:32 offset1:34
	ds_write2st64_b64 v0, v[31:32], v[33:34] offset0:4 offset1:6
	;; [unrolled: 1-line block ×14, first 2 shown]
	s_waitcnt lgkmcnt(0)
	s_barrier
	buffer_gl0_inv
	ds_read2st64_b64 v[1:4], v0 offset1:2
	ds_read2st64_b64 v[6:9], v0 offset0:12 offset1:14
	ds_read2st64_b64 v[10:13], v0 offset0:24 offset1:26
	s_clause 0x1
	buffer_load_dword v15, off, s[20:23], 0 offset:232
	buffer_load_dword v16, off, s[20:23], 0 offset:236
	s_waitcnt vmcnt(0) lgkmcnt(2)
	v_mul_f32_e32 v26, v16, v2
	v_mul_f32_e32 v14, v16, v1
	s_clause 0x1
	buffer_load_dword v16, off, s[20:23], 0 offset:240
	buffer_load_dword v17, off, s[20:23], 0 offset:244
	v_fmac_f32_e32 v26, v15, v1
	v_fma_f32 v27, v15, v2, -v14
	s_waitcnt vmcnt(0)
	v_mul_f32_e32 v5, v17, v4
	v_mul_f32_e32 v2, v17, v3
	v_mov_b32_e32 v25, v16
	v_fmac_f32_e32 v5, v16, v3
	ds_read2st64_b64 v[14:17], v0 offset0:36 offset1:38
	s_clause 0x3
	buffer_load_dword v18, off, s[20:23], 0 offset:216
	buffer_load_dword v19, off, s[20:23], 0 offset:220
	;; [unrolled: 1-line block ×4, first 2 shown]
	v_fma_f32 v42, v25, v4, -v2
	s_waitcnt vmcnt(2) lgkmcnt(2)
	v_mul_f32_e32 v3, v19, v6
	v_mov_b32_e32 v24, v18
	s_waitcnt vmcnt(0)
	v_mul_f32_e32 v1, v23, v9
	v_mul_f32_e32 v28, v19, v7
	ds_read2st64_b64 v[18:21], v0 offset0:48 offset1:50
	v_fma_f32 v29, v24, v7, -v3
	v_fmac_f32_e32 v1, v22, v8
	v_mul_f32_e32 v3, v23, v8
	v_mov_b32_e32 v7, v22
	s_clause 0x1
	buffer_load_dword v22, off, s[20:23], 0 offset:200
	buffer_load_dword v23, off, s[20:23], 0 offset:204
	v_fmac_f32_e32 v28, v24, v6
	v_fma_f32 v43, v7, v9, -v3
	s_waitcnt vmcnt(0) lgkmcnt(2)
	v_mul_f32_e32 v31, v23, v11
	v_mul_f32_e32 v4, v23, v10
	v_mov_b32_e32 v8, v22
	s_clause 0x1
	buffer_load_dword v22, off, s[20:23], 0 offset:208
	buffer_load_dword v23, off, s[20:23], 0 offset:212
	v_fmac_f32_e32 v31, v8, v10
	v_fma_f32 v33, v8, v11, -v4
	s_waitcnt vmcnt(0)
	v_mul_f32_e32 v6, v23, v12
	v_mov_b32_e32 v30, v22
	v_mul_f32_e32 v2, v23, v13
	ds_read2st64_b64 v[22:25], v0 offset0:4 offset1:6
	v_fma_f32 v44, v30, v13, -v6
	s_clause 0x1
	buffer_load_dword v6, off, s[20:23], 0 offset:176
	buffer_load_dword v7, off, s[20:23], 0 offset:180
	v_fmac_f32_e32 v2, v30, v12
	s_waitcnt vmcnt(0) lgkmcnt(2)
	v_mul_f32_e32 v41, v7, v15
	v_mul_f32_e32 v3, v7, v14
	v_mov_b32_e32 v10, v6
	s_clause 0x3
	buffer_load_dword v6, off, s[20:23], 0 offset:184
	buffer_load_dword v7, off, s[20:23], 0 offset:188
	;; [unrolled: 1-line block ×4, first 2 shown]
	v_fmac_f32_e32 v41, v10, v14
	v_fma_f32 v47, v10, v15, -v3
	s_waitcnt vmcnt(2)
	v_mul_f32_e32 v46, v7, v17
	v_mul_f32_e32 v4, v7, v16
	v_mov_b32_e32 v11, v6
	ds_read2st64_b64 v[6:9], v0 offset0:8 offset1:10
	s_waitcnt vmcnt(0) lgkmcnt(2)
	v_mul_f32_e32 v45, v13, v19
	v_fmac_f32_e32 v46, v11, v16
	v_fma_f32 v48, v11, v17, -v4
	v_mov_b32_e32 v10, v12
	v_mov_b32_e32 v11, v13
	v_fmac_f32_e32 v45, v10, v18
	v_mul_f32_e32 v3, v11, v18
	s_clause 0x3
	buffer_load_dword v11, off, s[20:23], 0 offset:160
	buffer_load_dword v12, off, s[20:23], 0 offset:164
	;; [unrolled: 1-line block ×4, first 2 shown]
	v_mov_b32_e32 v13, v10
	v_fma_f32 v50, v13, v19, -v3
	s_waitcnt vmcnt(2)
	v_mul_f32_e32 v4, v12, v20
	s_waitcnt vmcnt(0) lgkmcnt(1)
	v_mul_f32_e32 v18, v15, v25
	v_mul_f32_e32 v10, v15, v24
	;; [unrolled: 1-line block ×3, first 2 shown]
	v_fma_f32 v51, v11, v21, -v4
	v_fmac_f32_e32 v18, v14, v24
	v_fma_f32 v19, v14, v25, -v10
	v_cvt_f64_f32_e32 v[3:4], v26
	v_cvt_f64_f32_e32 v[14:15], v27
	s_clause 0x1
	buffer_load_dword v26, off, s[20:23], 0 offset:144
	buffer_load_dword v27, off, s[20:23], 0 offset:148
	v_fmac_f32_e32 v49, v11, v20
	s_clause 0x1
	buffer_load_dword v34, off, s[20:23], 0 offset:152
	buffer_load_dword v35, off, s[20:23], 0 offset:156
	ds_read2st64_b64 v[10:13], v0 offset0:16 offset1:18
	s_clause 0x1
	buffer_load_dword v24, off, s[20:23], 0
	buffer_load_dword v25, off, s[20:23], 0 offset:4
	v_mul_f64 v[3:4], v[3:4], s[6:7]
	v_mul_f64 v[14:15], v[14:15], s[6:7]
	v_cvt_f32_f64_e32 v3, v[3:4]
	v_cvt_f32_f64_e32 v4, v[14:15]
	s_waitcnt vmcnt(4)
	v_mul_f32_e32 v56, v27, v23
	v_mul_f32_e32 v20, v27, v22
	s_waitcnt vmcnt(2) lgkmcnt(1)
	v_mul_f32_e32 v52, v35, v7
	v_mul_f32_e32 v21, v35, v6
	s_waitcnt vmcnt(1)
	v_mad_u64_u32 v[16:17], null, s2, v24, 0
	v_fmac_f32_e32 v56, v26, v22
	v_fma_f32 v57, v26, v23, -v20
	s_clause 0x1
	buffer_load_dword v25, off, s[20:23], 0 offset:136
	buffer_load_dword v26, off, s[20:23], 0 offset:140
	v_fmac_f32_e32 v52, v34, v6
	v_fma_f32 v53, v34, v7, -v21
	v_cvt_f64_f32_e32 v[6:7], v18
	v_cvt_f64_f32_e32 v[18:19], v19
	v_mad_u64_u32 v[20:21], null, s3, v24, v[17:18]
	v_mad_u64_u32 v[21:22], null, s0, v230, 0
	s_load_dwordx2 s[2:3], s[4:5], 0x38
	v_mul_f64 v[18:19], v[18:19], s[6:7]
	v_mov_b32_e32 v17, v20
	s_waitcnt vmcnt(0)
	v_mul_f32_e32 v58, v26, v9
	v_mul_f32_e32 v23, v26, v8
	v_fmac_f32_e32 v58, v25, v8
	v_fma_f32 v59, v25, v9, -v23
	s_clause 0x1
	buffer_load_dword v8, off, s[20:23], 0 offset:120
	buffer_load_dword v9, off, s[20:23], 0 offset:124
	v_cvt_f64_f32_e32 v[23:24], v28
	v_cvt_f64_f32_e32 v[25:26], v29
	v_mul_f64 v[27:28], v[6:7], s[6:7]
	s_clause 0x1
	buffer_load_dword v34, off, s[20:23], 0 offset:128
	buffer_load_dword v35, off, s[20:23], 0 offset:132
	s_waitcnt vmcnt(2) lgkmcnt(0)
	v_mul_f32_e32 v30, v9, v13
	v_mul_f32_e32 v9, v9, v12
	v_mov_b32_e32 v32, v8
	v_mov_b32_e32 v8, v22
	s_waitcnt vmcnt(0)
	v_mul_f32_e32 v60, v35, v11
	v_mov_b32_e32 v54, v34
	v_fmac_f32_e32 v30, v32, v12
	v_mad_u64_u32 v[6:7], null, s1, v230, v[8:9]
	v_fma_f32 v20, v32, v13, -v9
	v_lshlrev_b64 v[12:13], 3, v[16:17]
	v_cvt_f64_f32_e32 v[16:17], v30
	v_fmac_f32_e32 v60, v34, v10
	v_mul_f32_e32 v10, v35, v10
	v_cvt_f64_f32_e32 v[29:30], v20
	v_mov_b32_e32 v22, v6
	v_add_co_u32 v14, vcc_lo, s2, v12
	v_add_co_ci_u32_e32 v15, vcc_lo, s3, v13, vcc_lo
	v_lshlrev_b64 v[12:13], 3, v[21:22]
	v_mul_f64 v[20:21], v[23:24], s[6:7]
	v_mul_f64 v[22:23], v[25:26], s[6:7]
	ds_read2st64_b64 v[6:9], v0 offset0:28 offset1:30
	v_cvt_f32_f64_e32 v24, v[27:28]
	v_cvt_f32_f64_e32 v25, v[18:19]
	v_add_co_u32 v26, vcc_lo, v14, v12
	v_add_co_ci_u32_e32 v27, vcc_lo, v15, v13, vcc_lo
	s_clause 0x1
	buffer_load_dword v12, off, s[20:23], 0 offset:112
	buffer_load_dword v13, off, s[20:23], 0 offset:116
	s_mul_i32 s2, s1, 0xc00
	s_mul_hi_u32 s3, s0, 0xc00
	v_mul_f64 v[35:36], v[16:17], s[6:7]
	s_add_i32 s2, s3, s2
	s_mul_i32 s3, s0, 0xc00
	v_mul_f64 v[28:29], v[29:30], s[6:7]
	v_add_co_u32 v39, vcc_lo, v26, s3
	v_add_co_ci_u32_e32 v40, vcc_lo, s2, v27, vcc_lo
	v_cvt_f64_f32_e32 v[31:32], v31
	v_cvt_f64_f32_e32 v[33:34], v33
	v_fma_f32 v61, v54, v11, -v10
	v_cvt_f32_f64_e32 v10, v[20:21]
	v_cvt_f32_f64_e32 v11, v[22:23]
	s_mulk_i32 s1, 0x9800
	s_sub_i32 s1, s1, s0
	v_cvt_f32_f64_e32 v22, v[35:36]
	v_cvt_f32_f64_e32 v23, v[28:29]
	v_add_co_u32 v28, vcc_lo, v39, s3
	v_add_co_ci_u32_e32 v29, vcc_lo, s2, v40, vcc_lo
	v_mul_f64 v[20:21], v[33:34], s[6:7]
	v_cvt_f64_f32_e32 v[34:35], v50
	s_waitcnt vmcnt(0) lgkmcnt(0)
	v_mul_f32_e32 v37, v13, v9
	v_mul_f32_e32 v18, v13, v8
	v_mov_b32_e32 v19, v12
	ds_read2st64_b64 v[12:15], v0 offset0:40 offset1:42
	v_fmac_f32_e32 v37, v19, v8
	v_fma_f32 v30, v19, v9, -v18
	ds_read2st64_b64 v[16:19], v0 offset0:52 offset1:54
	global_store_dwordx2 v[26:27], v[3:4], off
	global_store_dwordx2 v[39:40], v[24:25], off
	s_clause 0x1
	buffer_load_dword v25, off, s[20:23], 0 offset:104
	buffer_load_dword v26, off, s[20:23], 0 offset:108
	v_cvt_f64_f32_e32 v[8:9], v37
	v_cvt_f64_f32_e32 v[37:38], v30
	v_mul_f64 v[3:4], v[31:32], s[6:7]
	v_add_co_u32 v40, vcc_lo, v28, s3
	v_mul_f64 v[8:9], v[8:9], s[6:7]
	v_cvt_f32_f64_e32 v3, v[3:4]
	v_cvt_f32_f64_e32 v4, v[20:21]
	;; [unrolled: 1-line block ×3, first 2 shown]
	s_waitcnt vmcnt(0) lgkmcnt(1)
	v_mul_f32_e32 v30, v26, v15
	v_mul_f32_e32 v24, v26, v14
	v_mul_f64 v[26:27], v[37:38], s[6:7]
	v_fmac_f32_e32 v30, v25, v14
	v_fma_f32 v31, v25, v15, -v24
	s_clause 0x1
	buffer_load_dword v14, off, s[20:23], 0 offset:96
	buffer_load_dword v15, off, s[20:23], 0 offset:100
	v_cvt_f64_f32_e32 v[24:25], v47
	v_cvt_f32_f64_e32 v9, v[26:27]
	v_cvt_f64_f32_e32 v[26:27], v42
	v_mul_f64 v[20:21], v[24:25], s[6:7]
	v_cvt_f64_f32_e32 v[24:25], v5
	s_waitcnt vmcnt(0) lgkmcnt(0)
	v_mul_f32_e32 v36, v15, v19
	v_mul_f32_e32 v32, v15, v18
	v_mov_b32_e32 v33, v14
	v_cvt_f64_f32_e32 v[14:15], v41
	v_add_co_ci_u32_e32 v41, vcc_lo, s2, v29, vcc_lo
	global_store_dwordx2 v[28:29], v[10:11], off
	global_store_dwordx2 v[40:41], v[22:23], off
	v_fmac_f32_e32 v36, v33, v18
	v_fma_f32 v38, v33, v19, -v32
	v_cvt_f64_f32_e32 v[18:19], v30
	v_cvt_f64_f32_e32 v[32:33], v45
	v_cvt_f64_f32_e32 v[30:31], v31
	v_cvt_f64_f32_e32 v[36:37], v36
	v_cvt_f64_f32_e32 v[38:39], v38
	v_add_co_u32 v10, vcc_lo, v40, s3
	v_add_co_ci_u32_e32 v11, vcc_lo, s2, v41, vcc_lo
	global_store_dwordx2 v[10:11], v[3:4], off
	v_mul_f64 v[3:4], v[24:25], s[6:7]
	v_mul_f64 v[14:15], v[14:15], s[6:7]
	v_cvt_f64_f32_e32 v[24:25], v53
	v_mul_f64 v[18:19], v[18:19], s[6:7]
	v_mul_f64 v[28:29], v[32:33], s[6:7]
	v_mul_f64 v[22:23], v[30:31], s[6:7]
	v_mul_f64 v[32:33], v[36:37], s[6:7]
	v_add_co_u32 v36, vcc_lo, v10, s3
	v_add_co_ci_u32_e32 v37, vcc_lo, s2, v11, vcc_lo
	v_mul_f64 v[30:31], v[34:35], s[6:7]
	v_mul_f64 v[34:35], v[38:39], s[6:7]
	global_store_dwordx2 v[36:37], v[8:9], off
	v_add_co_u32 v36, vcc_lo, v36, s3
	v_cvt_f32_f64_e32 v14, v[14:15]
	v_cvt_f32_f64_e32 v15, v[20:21]
	v_add_co_ci_u32_e32 v37, vcc_lo, s2, v37, vcc_lo
	ds_read2st64_b64 v[8:11], v0 offset0:20 offset1:22
	v_cvt_f64_f32_e32 v[20:21], v52
	v_mul_f64 v[24:25], v[24:25], s[6:7]
	v_cvt_f32_f64_e32 v38, v[18:19]
	v_cvt_f32_f64_e32 v39, v[22:23]
	v_mul_f64 v[22:23], v[26:27], s[6:7]
	v_cvt_f32_f64_e32 v26, v[28:29]
	v_cvt_f32_f64_e32 v28, v[32:33]
	;; [unrolled: 1-line block ×5, first 2 shown]
	v_add_co_u32 v30, vcc_lo, v36, s3
	v_add_co_ci_u32_e32 v31, vcc_lo, s2, v37, vcc_lo
	v_cvt_f64_f32_e32 v[34:35], v43
	global_store_dwordx2 v[36:37], v[14:15], off
	s_clause 0x1
	buffer_load_dword v18, off, s[20:23], 0 offset:88
	buffer_load_dword v19, off, s[20:23], 0 offset:92
	v_cvt_f64_f32_e32 v[14:15], v1
	v_cvt_f64_f32_e32 v[42:43], v44
	v_mul_f64 v[3:4], v[20:21], s[6:7]
	v_cvt_f32_f64_e32 v33, v[22:23]
	v_mul_f64 v[14:15], v[14:15], s[6:7]
	v_cvt_f32_f64_e32 v14, v[14:15]
	s_waitcnt vmcnt(0) lgkmcnt(0)
	v_mul_f32_e32 v1, v19, v9
	v_mul_f32_e32 v5, v19, v8
	v_fmac_f32_e32 v1, v18, v8
	v_add_co_u32 v8, vcc_lo, v30, s3
	v_fma_f32 v5, v18, v9, -v5
	v_add_co_ci_u32_e32 v9, vcc_lo, s2, v31, vcc_lo
	v_add_co_u32 v44, vcc_lo, v8, s3
	ds_read2st64_b64 v[18:21], v0 offset0:32 offset1:34
	v_add_co_ci_u32_e32 v45, vcc_lo, s2, v9, vcc_lo
	global_store_dwordx2 v[30:31], v[38:39], off
	global_store_dwordx2 v[8:9], v[26:27], off
	;; [unrolled: 1-line block ×3, first 2 shown]
	v_cvt_f32_f64_e32 v8, v[3:4]
	s_clause 0x1
	buffer_load_dword v3, off, s[20:23], 0 offset:80
	buffer_load_dword v4, off, s[20:23], 0 offset:84
	v_cvt_f64_f32_e32 v[36:37], v1
	v_cvt_f64_f32_e32 v[40:41], v5
	;; [unrolled: 1-line block ×3, first 2 shown]
	v_cvt_f32_f64_e32 v9, v[24:25]
	v_mul_f64 v[26:27], v[34:35], s[6:7]
	v_mad_u64_u32 v[28:29], null, 0xffff9800, s0, v[44:45]
	v_cvt_f64_f32_e32 v[44:45], v46
	v_add_nc_u32_e32 v29, s1, v29
	v_mul_f64 v[30:31], v[36:37], s[6:7]
	v_mul_f64 v[34:35], v[40:41], s[6:7]
	;; [unrolled: 1-line block ×3, first 2 shown]
	v_cvt_f32_f64_e32 v15, v[26:27]
	v_cvt_f32_f64_e32 v30, v[30:31]
	v_cvt_f32_f64_e32 v31, v[34:35]
	v_cvt_f64_f32_e32 v[34:35], v48
	v_cvt_f32_f64_e32 v36, v[36:37]
	v_mul_f64 v[34:35], v[34:35], s[6:7]
	s_waitcnt vmcnt(0) lgkmcnt(0)
	v_mul_f32_e32 v5, v4, v19
	v_mul_f32_e32 v22, v4, v18
	v_fmac_f32_e32 v5, v3, v18
	v_mov_b32_e32 v18, v3
	ds_read2st64_b64 v[1:4], v0 offset0:44 offset1:46
	v_cvt_f64_f32_e32 v[38:39], v5
	v_fma_f32 v22, v18, v19, -v22
	v_mul_f64 v[18:19], v[42:43], s[6:7]
	v_add_co_u32 v42, vcc_lo, v28, s3
	v_add_co_ci_u32_e32 v43, vcc_lo, s2, v29, vcc_lo
	v_cvt_f64_f32_e32 v[40:41], v22
	ds_read2st64_b64 v[22:25], v0 offset0:56 offset1:58
	s_clause 0x1
	buffer_load_dword v46, off, s[20:23], 0 offset:64
	buffer_load_dword v47, off, s[20:23], 0 offset:68
	v_add_co_u32 v26, vcc_lo, v42, s3
	v_add_co_ci_u32_e32 v27, vcc_lo, s2, v43, vcc_lo
	v_cvt_f32_f64_e32 v37, v[18:19]
	v_mul_f64 v[18:19], v[40:41], s[6:7]
	s_waitcnt vmcnt(0) lgkmcnt(1)
	v_mul_f32_e32 v5, v47, v2
	v_mul_f32_e32 v0, v47, v1
	v_fmac_f32_e32 v5, v46, v1
	v_fma_f32 v2, v46, v2, -v0
	v_mul_f64 v[0:1], v[38:39], s[6:7]
	s_clause 0x1
	buffer_load_dword v38, off, s[20:23], 0 offset:72
	buffer_load_dword v39, off, s[20:23], 0 offset:76
	v_add_co_u32 v46, vcc_lo, v26, s3
	v_cvt_f64_f32_e32 v[40:41], v2
	v_add_co_ci_u32_e32 v47, vcc_lo, s2, v27, vcc_lo
	v_add_co_u32 v54, vcc_lo, v46, s3
	v_add_co_ci_u32_e32 v55, vcc_lo, s2, v47, vcc_lo
	global_store_dwordx2 v[28:29], v[32:33], off
	global_store_dwordx2 v[42:43], v[8:9], off
	;; [unrolled: 1-line block ×5, first 2 shown]
	v_cvt_f64_f32_e32 v[36:37], v56
	v_cvt_f64_f32_e32 v[46:47], v61
	v_cvt_f32_f64_e32 v0, v[0:1]
	v_cvt_f32_f64_e32 v1, v[18:19]
	v_add_co_u32 v18, vcc_lo, v54, s3
	v_mul_f64 v[14:15], v[40:41], s[6:7]
	v_cvt_f64_f32_e32 v[40:41], v59
	v_add_co_ci_u32_e32 v19, vcc_lo, s2, v55, vcc_lo
	v_add_co_u32 v42, vcc_lo, v18, s3
	v_add_co_ci_u32_e32 v43, vcc_lo, s2, v19, vcc_lo
	s_waitcnt vmcnt(0) lgkmcnt(0)
	v_mul_f32_e32 v50, v39, v23
	v_mul_f32_e32 v48, v39, v22
	v_mov_b32_e32 v52, v38
	v_cvt_f64_f32_e32 v[38:39], v5
	v_fmac_f32_e32 v50, v52, v22
	v_fma_f32 v2, v52, v23, -v48
	v_mul_f64 v[22:23], v[44:45], s[6:7]
	v_cvt_f64_f32_e32 v[44:45], v49
	v_cvt_f64_f32_e32 v[48:49], v51
	v_cvt_f64_f32_e32 v[50:51], v50
	v_cvt_f64_f32_e32 v[52:53], v2
	v_mul_f64 v[8:9], v[38:39], s[6:7]
	v_cvt_f64_f32_e32 v[38:39], v57
	v_cvt_f32_f64_e32 v22, v[22:23]
	v_cvt_f32_f64_e32 v23, v[34:35]
	s_clause 0x1
	buffer_load_dword v34, off, s[20:23], 0 offset:56
	buffer_load_dword v35, off, s[20:23], 0 offset:60
	v_mul_f64 v[26:27], v[44:45], s[6:7]
	v_mul_f64 v[28:29], v[48:49], s[6:7]
	;; [unrolled: 1-line block ×4, first 2 shown]
	v_cvt_f32_f64_e32 v8, v[8:9]
	v_cvt_f32_f64_e32 v9, v[14:15]
	v_add_co_u32 v14, vcc_lo, v42, s3
	v_add_co_ci_u32_e32 v15, vcc_lo, s2, v43, vcc_lo
	v_cvt_f32_f64_e32 v26, v[26:27]
	v_cvt_f32_f64_e32 v27, v[28:29]
	;; [unrolled: 1-line block ×4, first 2 shown]
	v_mul_f64 v[30:31], v[36:37], s[6:7]
	v_add_co_u32 v36, vcc_lo, v14, s3
	v_mul_f64 v[32:33], v[38:39], s[6:7]
	v_add_co_ci_u32_e32 v37, vcc_lo, s2, v15, vcc_lo
	v_mul_f64 v[38:39], v[40:41], s[6:7]
	v_add_co_u32 v40, vcc_lo, v36, s3
	v_add_co_ci_u32_e32 v41, vcc_lo, s2, v37, vcc_lo
	global_store_dwordx2 v[18:19], v[0:1], off
	global_store_dwordx2 v[42:43], v[22:23], off
	;; [unrolled: 1-line block ×5, first 2 shown]
	s_clause 0x1
	buffer_load_dword v18, off, s[20:23], 0 offset:48
	buffer_load_dword v19, off, s[20:23], 0 offset:52
	v_cvt_f32_f64_e32 v0, v[30:31]
	s_clause 0x1
	buffer_load_dword v30, off, s[20:23], 0 offset:40
	buffer_load_dword v31, off, s[20:23], 0 offset:44
	v_cvt_f32_f64_e32 v1, v[32:33]
	v_cvt_f32_f64_e32 v9, v[38:39]
	s_waitcnt vmcnt(4)
	v_mul_f32_e32 v2, v35, v11
	v_mul_f32_e32 v5, v35, v10
	v_mov_b32_e32 v44, v34
	v_cvt_f64_f32_e32 v[34:35], v58
	v_fmac_f32_e32 v2, v44, v10
	v_fma_f32 v5, v44, v11, -v5
	v_mad_u64_u32 v[44:45], null, 0xffff9800, s0, v[40:41]
	v_cvt_f64_f32_e32 v[10:11], v60
	v_cvt_f64_f32_e32 v[48:49], v2
	;; [unrolled: 1-line block ×3, first 2 shown]
	v_add_nc_u32_e32 v45, s1, v45
	v_add_co_u32 v14, vcc_lo, v44, s3
	v_add_co_ci_u32_e32 v15, vcc_lo, s2, v45, vcc_lo
	v_mul_f64 v[34:35], v[34:35], s[6:7]
	v_mul_f64 v[10:11], v[10:11], s[6:7]
	;; [unrolled: 1-line block ×3, first 2 shown]
	s_waitcnt vmcnt(2)
	v_mul_f32_e32 v2, v19, v7
	v_mul_f32_e32 v5, v19, v6
	v_cvt_f32_f64_e32 v8, v[34:35]
	s_clause 0x3
	buffer_load_dword v33, off, s[20:23], 0 offset:32
	buffer_load_dword v34, off, s[20:23], 0 offset:36
	;; [unrolled: 1-line block ×4, first 2 shown]
	v_fmac_f32_e32 v2, v18, v6
	v_fma_f32 v7, v18, v7, -v5
	s_waitcnt vmcnt(5)
	v_mov_b32_e32 v32, v30
	v_mul_f64 v[5:6], v[46:47], s[6:7]
	v_mul_f64 v[18:19], v[48:49], s[6:7]
	v_cvt_f64_f32_e32 v[26:27], v2
	s_waitcnt vmcnt(4)
	v_mul_f32_e32 v2, v31, v21
	v_cvt_f64_f32_e32 v[28:29], v7
	v_mul_f32_e32 v7, v31, v20
	v_fmac_f32_e32 v2, v32, v20
	v_fma_f32 v7, v32, v21, -v7
	v_cvt_f64_f32_e32 v[20:21], v7
	s_waitcnt vmcnt(2)
	v_mul_f32_e32 v30, v34, v13
	v_mul_f32_e32 v31, v34, v12
	s_waitcnt vmcnt(0)
	v_mul_f32_e32 v34, v37, v4
	v_mov_b32_e32 v38, v36
	v_fmac_f32_e32 v30, v33, v12
	v_fma_f32 v32, v33, v13, -v31
	v_fmac_f32_e32 v34, v36, v3
	v_cvt_f64_f32_e32 v[12:13], v2
	v_mul_f32_e32 v2, v37, v3
	s_clause 0x3
	buffer_load_dword v36, off, s[20:23], 0 offset:16
	buffer_load_dword v37, off, s[20:23], 0 offset:20
	;; [unrolled: 1-line block ×4, first 2 shown]
	v_cvt_f64_f32_e32 v[30:31], v30
	v_cvt_f64_f32_e32 v[32:33], v32
	v_fma_f32 v2, v38, v4, -v2
	v_cvt_f64_f32_e32 v[34:35], v34
	global_store_dwordx2 v[44:45], v[0:1], off
	global_store_dwordx2 v[14:15], v[8:9], off
	v_cvt_f32_f64_e32 v1, v[5:6]
	v_cvt_f32_f64_e32 v0, v[10:11]
	v_add_co_u32 v8, vcc_lo, v14, s3
	v_cvt_f32_f64_e32 v14, v[18:19]
	v_add_co_ci_u32_e32 v9, vcc_lo, s2, v15, vcc_lo
	v_cvt_f32_f64_e32 v15, v[22:23]
	v_mul_f64 v[10:11], v[12:13], s[6:7]
	v_mul_f64 v[12:13], v[20:21], s[6:7]
	;; [unrolled: 1-line block ×4, first 2 shown]
	v_add_co_u32 v30, vcc_lo, v8, s3
	v_mul_f64 v[22:23], v[34:35], s[6:7]
	v_add_co_ci_u32_e32 v31, vcc_lo, s2, v9, vcc_lo
	global_store_dwordx2 v[8:9], v[0:1], off
	global_store_dwordx2 v[30:31], v[14:15], off
	v_cvt_f32_f64_e32 v10, v[10:11]
	v_cvt_f32_f64_e32 v11, v[12:13]
	;; [unrolled: 1-line block ×5, first 2 shown]
	s_waitcnt vmcnt(2)
	v_mul_f32_e32 v7, v37, v17
	v_mul_f32_e32 v3, v37, v16
	v_mov_b32_e32 v39, v36
	s_waitcnt vmcnt(0)
	v_mul_f32_e32 v36, v41, v25
	v_mul_f32_e32 v37, v41, v24
	v_fmac_f32_e32 v7, v39, v16
	v_fma_f32 v4, v39, v17, -v3
	v_fmac_f32_e32 v36, v40, v24
	v_fma_f32 v38, v40, v25, -v37
	v_cvt_f64_f32_e32 v[2:3], v2
	v_cvt_f64_f32_e32 v[16:17], v7
	;; [unrolled: 1-line block ×5, first 2 shown]
	v_mul_f64 v[4:5], v[26:27], s[6:7]
	v_mul_f64 v[6:7], v[28:29], s[6:7]
	;; [unrolled: 1-line block ×7, first 2 shown]
	v_cvt_f32_f64_e32 v4, v[4:5]
	v_cvt_f32_f64_e32 v5, v[6:7]
	v_add_co_u32 v6, vcc_lo, v30, s3
	v_add_co_ci_u32_e32 v7, vcc_lo, s2, v31, vcc_lo
	v_add_co_u32 v12, vcc_lo, v6, s3
	v_add_co_ci_u32_e32 v13, vcc_lo, s2, v7, vcc_lo
	;; [unrolled: 2-line block ×3, first 2 shown]
	v_cvt_f32_f64_e32 v21, v[2:3]
	v_cvt_f32_f64_e32 v2, v[16:17]
	;; [unrolled: 1-line block ×5, first 2 shown]
	v_add_co_u32 v0, vcc_lo, v22, s3
	v_add_co_ci_u32_e32 v1, vcc_lo, s2, v23, vcc_lo
	global_store_dwordx2 v[6:7], v[4:5], off
	v_add_co_u32 v8, vcc_lo, v0, s3
	v_add_co_ci_u32_e32 v9, vcc_lo, s2, v1, vcc_lo
	v_add_co_u32 v4, vcc_lo, v8, s3
	v_add_co_ci_u32_e32 v5, vcc_lo, s2, v9, vcc_lo
	global_store_dwordx2 v[12:13], v[10:11], off
	global_store_dwordx2 v[22:23], v[18:19], off
	global_store_dwordx2 v[0:1], v[20:21], off
	global_store_dwordx2 v[8:9], v[2:3], off
	global_store_dwordx2 v[4:5], v[16:17], off
.LBB0_2:
	s_endpgm
	.section	.rodata,"a",@progbits
	.p2align	6, 0x0
	.amdhsa_kernel bluestein_single_back_len3840_dim1_sp_op_CI_CI
		.amdhsa_group_segment_fixed_size 30720
		.amdhsa_private_segment_fixed_size 784
		.amdhsa_kernarg_size 104
		.amdhsa_user_sgpr_count 6
		.amdhsa_user_sgpr_private_segment_buffer 1
		.amdhsa_user_sgpr_dispatch_ptr 0
		.amdhsa_user_sgpr_queue_ptr 0
		.amdhsa_user_sgpr_kernarg_segment_ptr 1
		.amdhsa_user_sgpr_dispatch_id 0
		.amdhsa_user_sgpr_flat_scratch_init 0
		.amdhsa_user_sgpr_private_segment_size 0
		.amdhsa_wavefront_size32 1
		.amdhsa_uses_dynamic_stack 0
		.amdhsa_system_sgpr_private_segment_wavefront_offset 1
		.amdhsa_system_sgpr_workgroup_id_x 1
		.amdhsa_system_sgpr_workgroup_id_y 0
		.amdhsa_system_sgpr_workgroup_id_z 0
		.amdhsa_system_sgpr_workgroup_info 0
		.amdhsa_system_vgpr_workitem_id 0
		.amdhsa_next_free_vgpr 256
		.amdhsa_next_free_sgpr 24
		.amdhsa_reserve_vcc 1
		.amdhsa_reserve_flat_scratch 0
		.amdhsa_float_round_mode_32 0
		.amdhsa_float_round_mode_16_64 0
		.amdhsa_float_denorm_mode_32 3
		.amdhsa_float_denorm_mode_16_64 3
		.amdhsa_dx10_clamp 1
		.amdhsa_ieee_mode 1
		.amdhsa_fp16_overflow 0
		.amdhsa_workgroup_processor_mode 1
		.amdhsa_memory_ordered 1
		.amdhsa_forward_progress 0
		.amdhsa_shared_vgpr_count 0
		.amdhsa_exception_fp_ieee_invalid_op 0
		.amdhsa_exception_fp_denorm_src 0
		.amdhsa_exception_fp_ieee_div_zero 0
		.amdhsa_exception_fp_ieee_overflow 0
		.amdhsa_exception_fp_ieee_underflow 0
		.amdhsa_exception_fp_ieee_inexact 0
		.amdhsa_exception_int_div_zero 0
	.end_amdhsa_kernel
	.text
.Lfunc_end0:
	.size	bluestein_single_back_len3840_dim1_sp_op_CI_CI, .Lfunc_end0-bluestein_single_back_len3840_dim1_sp_op_CI_CI
                                        ; -- End function
	.section	.AMDGPU.csdata,"",@progbits
; Kernel info:
; codeLenInByte = 36688
; NumSgprs: 26
; NumVgprs: 256
; ScratchSize: 784
; MemoryBound: 0
; FloatMode: 240
; IeeeMode: 1
; LDSByteSize: 30720 bytes/workgroup (compile time only)
; SGPRBlocks: 3
; VGPRBlocks: 31
; NumSGPRsForWavesPerEU: 26
; NumVGPRsForWavesPerEU: 256
; Occupancy: 4
; WaveLimiterHint : 1
; COMPUTE_PGM_RSRC2:SCRATCH_EN: 1
; COMPUTE_PGM_RSRC2:USER_SGPR: 6
; COMPUTE_PGM_RSRC2:TRAP_HANDLER: 0
; COMPUTE_PGM_RSRC2:TGID_X_EN: 1
; COMPUTE_PGM_RSRC2:TGID_Y_EN: 0
; COMPUTE_PGM_RSRC2:TGID_Z_EN: 0
; COMPUTE_PGM_RSRC2:TIDIG_COMP_CNT: 0
	.text
	.p2alignl 6, 3214868480
	.fill 48, 4, 3214868480
	.type	__hip_cuid_f5a1d6ba3f9fd33d,@object ; @__hip_cuid_f5a1d6ba3f9fd33d
	.section	.bss,"aw",@nobits
	.globl	__hip_cuid_f5a1d6ba3f9fd33d
__hip_cuid_f5a1d6ba3f9fd33d:
	.byte	0                               ; 0x0
	.size	__hip_cuid_f5a1d6ba3f9fd33d, 1

	.ident	"AMD clang version 19.0.0git (https://github.com/RadeonOpenCompute/llvm-project roc-6.4.0 25133 c7fe45cf4b819c5991fe208aaa96edf142730f1d)"
	.section	".note.GNU-stack","",@progbits
	.addrsig
	.addrsig_sym __hip_cuid_f5a1d6ba3f9fd33d
	.amdgpu_metadata
---
amdhsa.kernels:
  - .args:
      - .actual_access:  read_only
        .address_space:  global
        .offset:         0
        .size:           8
        .value_kind:     global_buffer
      - .actual_access:  read_only
        .address_space:  global
        .offset:         8
        .size:           8
        .value_kind:     global_buffer
      - .actual_access:  read_only
        .address_space:  global
        .offset:         16
        .size:           8
        .value_kind:     global_buffer
      - .actual_access:  read_only
        .address_space:  global
        .offset:         24
        .size:           8
        .value_kind:     global_buffer
      - .actual_access:  read_only
        .address_space:  global
        .offset:         32
        .size:           8
        .value_kind:     global_buffer
      - .offset:         40
        .size:           8
        .value_kind:     by_value
      - .address_space:  global
        .offset:         48
        .size:           8
        .value_kind:     global_buffer
      - .address_space:  global
        .offset:         56
        .size:           8
        .value_kind:     global_buffer
      - .address_space:  global
        .offset:         64
        .size:           8
        .value_kind:     global_buffer
      - .address_space:  global
        .offset:         72
        .size:           8
        .value_kind:     global_buffer
      - .offset:         80
        .size:           4
        .value_kind:     by_value
      - .address_space:  global
        .offset:         88
        .size:           8
        .value_kind:     global_buffer
      - .address_space:  global
        .offset:         96
        .size:           8
        .value_kind:     global_buffer
    .group_segment_fixed_size: 30720
    .kernarg_segment_align: 8
    .kernarg_segment_size: 104
    .language:       OpenCL C
    .language_version:
      - 2
      - 0
    .max_flat_workgroup_size: 128
    .name:           bluestein_single_back_len3840_dim1_sp_op_CI_CI
    .private_segment_fixed_size: 784
    .sgpr_count:     26
    .sgpr_spill_count: 0
    .symbol:         bluestein_single_back_len3840_dim1_sp_op_CI_CI.kd
    .uniform_work_group_size: 1
    .uses_dynamic_stack: false
    .vgpr_count:     256
    .vgpr_spill_count: 195
    .wavefront_size: 32
    .workgroup_processor_mode: 1
amdhsa.target:   amdgcn-amd-amdhsa--gfx1030
amdhsa.version:
  - 1
  - 2
...

	.end_amdgpu_metadata
